;; amdgpu-corpus repo=ggml-org/llama.cpp kind=compiled arch=gfx906 opt=O3
	.amdgcn_target "amdgcn-amd-amdhsa--gfx906"
	.amdhsa_code_object_version 6
	.section	.text._ZL11diag_kernelIfEvPT_PKS0_lllll,"axG",@progbits,_ZL11diag_kernelIfEvPT_PKS0_lllll,comdat
	.globl	_ZL11diag_kernelIfEvPT_PKS0_lllll ; -- Begin function _ZL11diag_kernelIfEvPT_PKS0_lllll
	.p2align	8
	.type	_ZL11diag_kernelIfEvPT_PKS0_lllll,@function
_ZL11diag_kernelIfEvPT_PKS0_lllll:      ; @_ZL11diag_kernelIfEvPT_PKS0_lllll
; %bb.0:
	s_load_dword s2, s[4:5], 0x44
	s_load_dwordx2 s[0:1], s[4:5], 0x30
	v_mov_b32_e32 v1, 0
	s_waitcnt lgkmcnt(0)
	s_and_b32 s2, s2, 0xffff
	s_mul_i32 s6, s6, s2
	v_add_u32_e32 v0, s6, v0
	v_cmp_gt_i64_e32 vcc, s[0:1], v[0:1]
	s_and_saveexec_b64 s[0:1], vcc
	s_cbranch_execz .LBB0_21
; %bb.1:
	s_load_dwordx4 s[8:11], s[4:5], 0x10
	s_load_dwordx2 s[6:7], s[4:5], 0x20
	s_mov_b32 s0, 0
	s_waitcnt lgkmcnt(0)
	s_mov_b32 s1, s9
	s_cmp_lg_u64 s[0:1], 0
	s_cbranch_scc0 .LBB0_22
; %bb.2:
	s_ashr_i32 s2, s9, 31
	s_add_u32 s0, s8, s2
	s_mov_b32 s3, s2
	s_addc_u32 s1, s9, s2
	s_xor_b64 s[12:13], s[0:1], s[2:3]
	v_cvt_f32_u32_e32 v1, s12
	v_cvt_f32_u32_e32 v2, s13
	s_sub_u32 s3, 0, s12
	s_subb_u32 s14, 0, s13
	v_add_co_u32_e32 v5, vcc, 0, v0
	v_madmk_f32 v1, v2, 0x4f800000, v1
	v_rcp_f32_e32 v1, v1
	v_mul_f32_e32 v1, 0x5f7ffffc, v1
	v_mul_f32_e32 v2, 0x2f800000, v1
	v_trunc_f32_e32 v2, v2
	v_madmk_f32 v1, v2, 0xcf800000, v1
	v_cvt_u32_f32_e32 v2, v2
	v_cvt_u32_f32_e32 v1, v1
	v_readfirstlane_b32 s15, v2
	v_readfirstlane_b32 s0, v1
	s_mul_i32 s1, s3, s15
	s_mul_hi_u32 s17, s3, s0
	s_mul_i32 s16, s14, s0
	s_add_i32 s1, s17, s1
	s_add_i32 s1, s1, s16
	s_mul_i32 s18, s3, s0
	s_mul_i32 s17, s0, s1
	s_mul_hi_u32 s19, s0, s18
	s_mul_hi_u32 s16, s0, s1
	s_add_u32 s17, s19, s17
	s_addc_u32 s16, 0, s16
	s_mul_hi_u32 s20, s15, s18
	s_mul_i32 s18, s15, s18
	s_add_u32 s17, s17, s18
	s_mul_hi_u32 s19, s15, s1
	s_addc_u32 s16, s16, s20
	s_addc_u32 s17, s19, 0
	s_mul_i32 s1, s15, s1
	s_add_u32 s1, s16, s1
	s_addc_u32 s16, 0, s17
	s_add_u32 s17, s0, s1
	s_cselect_b64 s[0:1], -1, 0
	s_cmp_lg_u64 s[0:1], 0
	s_addc_u32 s15, s15, s16
	s_mul_i32 s0, s3, s15
	s_mul_hi_u32 s1, s3, s17
	s_add_i32 s0, s1, s0
	s_mul_i32 s14, s14, s17
	s_add_i32 s0, s0, s14
	s_mul_i32 s3, s3, s17
	s_mul_hi_u32 s14, s15, s3
	s_mul_i32 s16, s15, s3
	s_mul_i32 s19, s17, s0
	s_mul_hi_u32 s3, s17, s3
	s_mul_hi_u32 s18, s17, s0
	s_add_u32 s3, s3, s19
	s_addc_u32 s18, 0, s18
	s_add_u32 s3, s3, s16
	s_mul_hi_u32 s1, s15, s0
	s_addc_u32 s3, s18, s14
	s_addc_u32 s1, s1, 0
	s_mul_i32 s0, s15, s0
	s_add_u32 s0, s3, s0
	s_addc_u32 s3, 0, s1
	s_add_u32 s14, s17, s0
	s_cselect_b64 s[0:1], -1, 0
	s_cmp_lg_u64 s[0:1], 0
	s_addc_u32 s3, s15, s3
	v_mad_u64_u32 v[1:2], s[0:1], v5, s3, 0
	v_mul_hi_u32 v3, v5, s14
	v_addc_co_u32_e64 v6, s[0:1], 0, 0, vcc
	v_add_co_u32_e32 v7, vcc, v3, v1
	v_addc_co_u32_e32 v8, vcc, 0, v2, vcc
	v_mad_u64_u32 v[1:2], s[0:1], v6, s14, 0
	v_mad_u64_u32 v[3:4], s[0:1], v6, s3, 0
	v_add_co_u32_e32 v1, vcc, v7, v1
	v_addc_co_u32_e32 v1, vcc, v8, v2, vcc
	v_addc_co_u32_e32 v2, vcc, 0, v4, vcc
	v_add_co_u32_e32 v3, vcc, v1, v3
	v_addc_co_u32_e32 v4, vcc, 0, v2, vcc
	v_mul_lo_u32 v7, s13, v3
	v_mul_lo_u32 v8, s12, v4
	v_mad_u64_u32 v[1:2], s[0:1], s12, v3, 0
	v_add3_u32 v2, v2, v8, v7
	v_sub_u32_e32 v7, v6, v2
	v_mov_b32_e32 v8, s13
	v_sub_co_u32_e32 v1, vcc, v5, v1
	v_subb_co_u32_e64 v5, s[0:1], v7, v8, vcc
	v_subrev_co_u32_e64 v7, s[0:1], s12, v1
	v_subbrev_co_u32_e64 v5, s[0:1], 0, v5, s[0:1]
	v_cmp_le_u32_e64 s[0:1], s13, v5
	v_cndmask_b32_e64 v8, 0, -1, s[0:1]
	v_cmp_le_u32_e64 s[0:1], s12, v7
	v_cndmask_b32_e64 v7, 0, -1, s[0:1]
	v_cmp_eq_u32_e64 s[0:1], s13, v5
	v_cndmask_b32_e64 v5, v8, v7, s[0:1]
	v_add_co_u32_e64 v7, s[0:1], 2, v3
	v_subb_co_u32_e32 v2, vcc, v6, v2, vcc
	v_addc_co_u32_e64 v8, s[0:1], 0, v4, s[0:1]
	v_cmp_le_u32_e32 vcc, s13, v2
	v_add_co_u32_e64 v9, s[0:1], 1, v3
	v_cndmask_b32_e64 v6, 0, -1, vcc
	v_cmp_le_u32_e32 vcc, s12, v1
	v_addc_co_u32_e64 v10, s[0:1], 0, v4, s[0:1]
	v_cndmask_b32_e64 v1, 0, -1, vcc
	v_cmp_eq_u32_e32 vcc, s13, v2
	v_cmp_ne_u32_e64 s[0:1], 0, v5
	v_cndmask_b32_e32 v1, v6, v1, vcc
	v_cndmask_b32_e64 v5, v10, v8, s[0:1]
	v_cmp_ne_u32_e32 vcc, 0, v1
	v_cndmask_b32_e64 v2, v9, v7, s[0:1]
	v_cndmask_b32_e32 v1, v4, v5, vcc
	v_cndmask_b32_e32 v2, v3, v2, vcc
	v_xor_b32_e32 v3, s2, v1
	v_xor_b32_e32 v1, s2, v2
	v_mov_b32_e32 v2, s2
	v_subrev_co_u32_e32 v1, vcc, s2, v1
	v_subb_co_u32_e32 v2, vcc, v3, v2, vcc
	s_cbranch_execnz .LBB0_4
.LBB0_3:
	v_cvt_f32_u32_e32 v1, s8
	s_sub_i32 s0, 0, s8
	v_rcp_iflag_f32_e32 v1, v1
	v_mul_f32_e32 v1, 0x4f7ffffe, v1
	v_cvt_u32_f32_e32 v1, v1
	v_mul_lo_u32 v2, s0, v1
	v_mul_hi_u32 v2, v1, v2
	v_add_u32_e32 v1, v1, v2
	v_mul_hi_u32 v1, v0, v1
	v_mul_lo_u32 v2, v1, s8
	v_add_u32_e32 v3, 1, v1
	v_sub_u32_e32 v2, v0, v2
	v_subrev_u32_e32 v4, s8, v2
	v_cmp_le_u32_e32 vcc, s8, v2
	v_cndmask_b32_e32 v2, v2, v4, vcc
	v_cndmask_b32_e32 v1, v1, v3, vcc
	v_add_u32_e32 v3, 1, v1
	v_cmp_le_u32_e32 vcc, s8, v2
	v_cndmask_b32_e32 v1, v1, v3, vcc
	v_mov_b32_e32 v2, 0
.LBB0_4:
	v_or_b32_e32 v4, s11, v2
	v_mov_b32_e32 v3, 0
	v_cmp_ne_u64_e32 vcc, 0, v[3:4]
                                        ; implicit-def: $vgpr3_vgpr4
	s_and_saveexec_b64 s[0:1], vcc
	s_xor_b64 s[12:13], exec, s[0:1]
	s_cbranch_execz .LBB0_6
; %bb.5:
	s_ashr_i32 s0, s11, 31
	s_add_u32 s2, s10, s0
	s_mov_b32 s1, s0
	s_addc_u32 s3, s11, s0
	s_xor_b64 s[14:15], s[2:3], s[0:1]
	v_cvt_f32_u32_e32 v3, s14
	v_cvt_f32_u32_e32 v4, s15
	s_sub_u32 s2, 0, s14
	s_subb_u32 s3, 0, s15
	v_ashrrev_i32_e32 v7, 31, v2
	v_madmk_f32 v3, v4, 0x4f800000, v3
	v_rcp_f32_e32 v3, v3
	v_mul_f32_e32 v3, 0x5f7ffffc, v3
	v_mul_f32_e32 v4, 0x2f800000, v3
	v_trunc_f32_e32 v4, v4
	v_madmk_f32 v3, v4, 0xcf800000, v3
	v_cvt_u32_f32_e32 v4, v4
	v_cvt_u32_f32_e32 v3, v3
	v_readfirstlane_b32 s16, v4
	v_readfirstlane_b32 s0, v3
	s_mul_i32 s1, s2, s16
	s_mul_hi_u32 s18, s2, s0
	s_mul_i32 s17, s3, s0
	s_add_i32 s1, s18, s1
	s_add_i32 s1, s1, s17
	s_mul_i32 s19, s2, s0
	s_mul_i32 s18, s0, s1
	s_mul_hi_u32 s20, s0, s19
	s_mul_hi_u32 s17, s0, s1
	s_add_u32 s18, s20, s18
	s_addc_u32 s17, 0, s17
	s_mul_hi_u32 s21, s16, s19
	s_mul_i32 s19, s16, s19
	s_add_u32 s18, s18, s19
	s_mul_hi_u32 s20, s16, s1
	s_addc_u32 s17, s17, s21
	s_addc_u32 s18, s20, 0
	s_mul_i32 s1, s16, s1
	s_add_u32 s1, s17, s1
	s_addc_u32 s17, 0, s18
	s_add_u32 s18, s0, s1
	s_cselect_b64 s[0:1], -1, 0
	s_cmp_lg_u64 s[0:1], 0
	s_addc_u32 s16, s16, s17
	s_mul_i32 s0, s2, s16
	s_mul_hi_u32 s1, s2, s18
	s_add_i32 s0, s1, s0
	s_mul_i32 s3, s3, s18
	s_add_i32 s0, s0, s3
	s_mul_i32 s2, s2, s18
	s_mul_hi_u32 s3, s16, s2
	s_mul_i32 s17, s16, s2
	s_mul_i32 s20, s18, s0
	s_mul_hi_u32 s2, s18, s2
	s_mul_hi_u32 s19, s18, s0
	s_add_u32 s2, s2, s20
	s_addc_u32 s19, 0, s19
	s_add_u32 s2, s2, s17
	s_mul_hi_u32 s1, s16, s0
	s_addc_u32 s2, s19, s3
	s_addc_u32 s1, s1, 0
	s_mul_i32 s0, s16, s0
	s_add_u32 s0, s2, s0
	s_addc_u32 s2, 0, s1
	s_add_u32 s3, s18, s0
	s_cselect_b64 s[0:1], -1, 0
	s_cmp_lg_u64 s[0:1], 0
	v_add_co_u32_e32 v3, vcc, v1, v7
	s_addc_u32 s2, s16, s2
	v_xor_b32_e32 v8, v3, v7
	v_mad_u64_u32 v[3:4], s[0:1], v8, s2, 0
	v_mul_hi_u32 v6, v8, s3
	v_addc_co_u32_e32 v5, vcc, v2, v7, vcc
	v_xor_b32_e32 v9, v5, v7
	v_add_co_u32_e32 v10, vcc, v6, v3
	v_addc_co_u32_e32 v11, vcc, 0, v4, vcc
	v_mad_u64_u32 v[3:4], s[0:1], v9, s3, 0
	v_mad_u64_u32 v[5:6], s[0:1], v9, s2, 0
	v_add_co_u32_e32 v3, vcc, v10, v3
	v_addc_co_u32_e32 v3, vcc, v11, v4, vcc
	v_addc_co_u32_e32 v4, vcc, 0, v6, vcc
	v_add_co_u32_e32 v3, vcc, v3, v5
	v_addc_co_u32_e32 v4, vcc, 0, v4, vcc
	v_mul_lo_u32 v5, s15, v3
	v_mul_lo_u32 v6, s14, v4
	v_mad_u64_u32 v[3:4], s[0:1], s14, v3, 0
	v_add3_u32 v4, v4, v6, v5
	v_sub_u32_e32 v5, v9, v4
	v_mov_b32_e32 v6, s15
	v_sub_co_u32_e32 v3, vcc, v8, v3
	v_subb_co_u32_e64 v5, s[0:1], v5, v6, vcc
	v_subrev_co_u32_e64 v8, s[0:1], s14, v3
	v_subbrev_co_u32_e64 v10, s[2:3], 0, v5, s[0:1]
	v_cmp_le_u32_e64 s[2:3], s15, v10
	v_cndmask_b32_e64 v11, 0, -1, s[2:3]
	v_cmp_le_u32_e64 s[2:3], s14, v8
	v_subb_co_u32_e64 v5, s[0:1], v5, v6, s[0:1]
	v_cndmask_b32_e64 v12, 0, -1, s[2:3]
	v_cmp_eq_u32_e64 s[2:3], s15, v10
	v_subrev_co_u32_e64 v6, s[0:1], s14, v8
	v_subb_co_u32_e32 v4, vcc, v9, v4, vcc
	v_cndmask_b32_e64 v11, v11, v12, s[2:3]
	v_subbrev_co_u32_e64 v5, s[0:1], 0, v5, s[0:1]
	v_cmp_le_u32_e32 vcc, s15, v4
	v_cmp_ne_u32_e64 s[0:1], 0, v11
	v_cndmask_b32_e64 v9, 0, -1, vcc
	v_cmp_le_u32_e32 vcc, s14, v3
	v_cndmask_b32_e64 v5, v10, v5, s[0:1]
	v_cndmask_b32_e64 v10, 0, -1, vcc
	v_cmp_eq_u32_e32 vcc, s15, v4
	v_cndmask_b32_e32 v9, v9, v10, vcc
	v_cmp_ne_u32_e32 vcc, 0, v9
	v_cndmask_b32_e32 v4, v4, v5, vcc
	v_cndmask_b32_e64 v5, v8, v6, s[0:1]
	v_cndmask_b32_e32 v3, v3, v5, vcc
	v_xor_b32_e32 v3, v3, v7
	v_xor_b32_e32 v4, v4, v7
	v_sub_co_u32_e32 v3, vcc, v3, v7
	v_subb_co_u32_e32 v4, vcc, v4, v7, vcc
.LBB0_6:
	s_andn2_saveexec_b64 s[0:1], s[12:13]
	s_cbranch_execz .LBB0_8
; %bb.7:
	v_cvt_f32_u32_e32 v3, s10
	s_sub_i32 s2, 0, s10
	v_rcp_iflag_f32_e32 v3, v3
	v_mul_f32_e32 v3, 0x4f7ffffe, v3
	v_cvt_u32_f32_e32 v3, v3
	v_mul_lo_u32 v4, s2, v3
	v_mul_hi_u32 v4, v3, v4
	v_add_u32_e32 v3, v3, v4
	v_mul_hi_u32 v3, v1, v3
	v_mul_lo_u32 v3, v3, s10
	v_sub_u32_e32 v3, v1, v3
	v_subrev_u32_e32 v4, s10, v3
	v_cmp_le_u32_e32 vcc, s10, v3
	v_cndmask_b32_e32 v3, v3, v4, vcc
	v_subrev_u32_e32 v4, s10, v3
	v_cmp_le_u32_e32 vcc, s10, v3
	v_cndmask_b32_e32 v3, v3, v4, vcc
	v_mov_b32_e32 v4, 0
.LBB0_8:
	s_or_b64 exec, exec, s[0:1]
	s_mul_i32 s0, s10, s9
	s_mul_hi_u32 s1, s10, s8
	s_add_i32 s0, s1, s0
	s_mul_i32 s1, s11, s8
	s_add_i32 s13, s0, s1
	s_mov_b32 s12, 0
	s_cmp_lg_u64 s[12:13], 0
	s_mul_i32 s12, s10, s8
	s_cbranch_scc0 .LBB0_23
; %bb.9:
	s_ashr_i32 s2, s13, 31
	s_add_u32 s0, s12, s2
	s_mov_b32 s3, s2
	s_addc_u32 s1, s13, s2
	s_xor_b64 s[14:15], s[0:1], s[2:3]
	v_cvt_f32_u32_e32 v5, s14
	v_cvt_f32_u32_e32 v6, s15
	s_sub_u32 s3, 0, s14
	s_subb_u32 s16, 0, s15
	v_add_co_u32_e32 v9, vcc, 0, v0
	v_madmk_f32 v5, v6, 0x4f800000, v5
	v_rcp_f32_e32 v5, v5
	v_mul_f32_e32 v5, 0x5f7ffffc, v5
	v_mul_f32_e32 v6, 0x2f800000, v5
	v_trunc_f32_e32 v6, v6
	v_madmk_f32 v5, v6, 0xcf800000, v5
	v_cvt_u32_f32_e32 v6, v6
	v_cvt_u32_f32_e32 v5, v5
	v_readfirstlane_b32 s17, v6
	v_readfirstlane_b32 s0, v5
	s_mul_i32 s1, s3, s17
	s_mul_hi_u32 s19, s3, s0
	s_mul_i32 s18, s16, s0
	s_add_i32 s1, s19, s1
	s_add_i32 s1, s1, s18
	s_mul_i32 s20, s3, s0
	s_mul_i32 s19, s0, s1
	s_mul_hi_u32 s21, s0, s20
	s_mul_hi_u32 s18, s0, s1
	s_add_u32 s19, s21, s19
	s_addc_u32 s18, 0, s18
	s_mul_hi_u32 s22, s17, s20
	s_mul_i32 s20, s17, s20
	s_add_u32 s19, s19, s20
	s_mul_hi_u32 s21, s17, s1
	s_addc_u32 s18, s18, s22
	s_addc_u32 s19, s21, 0
	s_mul_i32 s1, s17, s1
	s_add_u32 s1, s18, s1
	s_addc_u32 s18, 0, s19
	s_add_u32 s19, s0, s1
	s_cselect_b64 s[0:1], -1, 0
	s_cmp_lg_u64 s[0:1], 0
	s_addc_u32 s17, s17, s18
	s_mul_i32 s0, s3, s17
	s_mul_hi_u32 s1, s3, s19
	s_add_i32 s0, s1, s0
	s_mul_i32 s16, s16, s19
	s_add_i32 s0, s0, s16
	s_mul_i32 s3, s3, s19
	s_mul_hi_u32 s16, s17, s3
	s_mul_i32 s18, s17, s3
	s_mul_i32 s21, s19, s0
	s_mul_hi_u32 s3, s19, s3
	s_mul_hi_u32 s20, s19, s0
	s_add_u32 s3, s3, s21
	s_addc_u32 s20, 0, s20
	s_add_u32 s3, s3, s18
	s_mul_hi_u32 s1, s17, s0
	s_addc_u32 s3, s20, s16
	s_addc_u32 s1, s1, 0
	s_mul_i32 s0, s17, s0
	s_add_u32 s0, s3, s0
	s_addc_u32 s3, 0, s1
	s_add_u32 s16, s19, s0
	s_cselect_b64 s[0:1], -1, 0
	s_cmp_lg_u64 s[0:1], 0
	s_addc_u32 s3, s17, s3
	v_mad_u64_u32 v[5:6], s[0:1], v9, s3, 0
	v_mul_hi_u32 v7, v9, s16
	v_addc_co_u32_e64 v10, s[0:1], 0, 0, vcc
	v_add_co_u32_e32 v11, vcc, v7, v5
	v_addc_co_u32_e32 v12, vcc, 0, v6, vcc
	v_mad_u64_u32 v[5:6], s[0:1], v10, s16, 0
	v_mad_u64_u32 v[7:8], s[0:1], v10, s3, 0
	v_add_co_u32_e32 v5, vcc, v11, v5
	v_addc_co_u32_e32 v5, vcc, v12, v6, vcc
	v_addc_co_u32_e32 v6, vcc, 0, v8, vcc
	v_add_co_u32_e32 v7, vcc, v5, v7
	v_addc_co_u32_e32 v8, vcc, 0, v6, vcc
	v_mul_lo_u32 v11, s15, v7
	v_mul_lo_u32 v12, s14, v8
	v_mad_u64_u32 v[5:6], s[0:1], s14, v7, 0
	v_add3_u32 v6, v6, v12, v11
	v_sub_u32_e32 v11, v10, v6
	v_mov_b32_e32 v12, s15
	v_sub_co_u32_e32 v5, vcc, v9, v5
	v_subb_co_u32_e64 v9, s[0:1], v11, v12, vcc
	v_subrev_co_u32_e64 v11, s[0:1], s14, v5
	v_subbrev_co_u32_e64 v9, s[0:1], 0, v9, s[0:1]
	v_cmp_le_u32_e64 s[0:1], s15, v9
	v_cndmask_b32_e64 v12, 0, -1, s[0:1]
	v_cmp_le_u32_e64 s[0:1], s14, v11
	v_cndmask_b32_e64 v11, 0, -1, s[0:1]
	v_cmp_eq_u32_e64 s[0:1], s15, v9
	v_cndmask_b32_e64 v9, v12, v11, s[0:1]
	v_add_co_u32_e64 v11, s[0:1], 2, v7
	v_subb_co_u32_e32 v6, vcc, v10, v6, vcc
	v_addc_co_u32_e64 v12, s[0:1], 0, v8, s[0:1]
	v_cmp_le_u32_e32 vcc, s15, v6
	v_add_co_u32_e64 v13, s[0:1], 1, v7
	v_cndmask_b32_e64 v10, 0, -1, vcc
	v_cmp_le_u32_e32 vcc, s14, v5
	v_addc_co_u32_e64 v14, s[0:1], 0, v8, s[0:1]
	v_cndmask_b32_e64 v5, 0, -1, vcc
	v_cmp_eq_u32_e32 vcc, s15, v6
	v_cmp_ne_u32_e64 s[0:1], 0, v9
	v_cndmask_b32_e32 v5, v10, v5, vcc
	v_cmp_ne_u32_e32 vcc, 0, v5
	v_cndmask_b32_e64 v6, v13, v11, s[0:1]
	v_cndmask_b32_e64 v9, v14, v12, s[0:1]
	v_cndmask_b32_e32 v6, v7, v6, vcc
	v_cndmask_b32_e32 v5, v8, v9, vcc
	v_xor_b32_e32 v6, s2, v6
	v_xor_b32_e32 v5, s2, v5
	v_mov_b32_e32 v8, s2
	v_subrev_co_u32_e32 v7, vcc, s2, v6
	v_subb_co_u32_e32 v8, vcc, v5, v8, vcc
	s_cbranch_execnz .LBB0_11
.LBB0_10:
	v_cvt_f32_u32_e32 v5, s12
	s_sub_i32 s0, 0, s12
	v_rcp_iflag_f32_e32 v5, v5
	v_mul_f32_e32 v5, 0x4f7ffffe, v5
	v_cvt_u32_f32_e32 v5, v5
	v_mul_lo_u32 v6, s0, v5
	v_mul_hi_u32 v6, v5, v6
	v_add_u32_e32 v5, v5, v6
	v_mul_hi_u32 v5, v0, v5
	v_mul_lo_u32 v6, v5, s12
	v_add_u32_e32 v7, 1, v5
	v_sub_u32_e32 v6, v0, v6
	v_subrev_u32_e32 v8, s12, v6
	v_cmp_le_u32_e32 vcc, s12, v6
	v_cndmask_b32_e32 v6, v6, v8, vcc
	v_cndmask_b32_e32 v5, v5, v7, vcc
	v_add_u32_e32 v7, 1, v5
	v_cmp_le_u32_e32 vcc, s12, v6
	v_cndmask_b32_e32 v7, v5, v7, vcc
	v_mov_b32_e32 v8, 0
.LBB0_11:
	v_or_b32_e32 v6, s7, v8
	v_mov_b32_e32 v5, 0
	v_cmp_ne_u64_e32 vcc, 0, v[5:6]
                                        ; implicit-def: $vgpr5_vgpr6
	s_and_saveexec_b64 s[0:1], vcc
	s_xor_b64 s[14:15], exec, s[0:1]
	s_cbranch_execz .LBB0_13
; %bb.12:
	s_ashr_i32 s0, s7, 31
	s_add_u32 s2, s6, s0
	s_mov_b32 s1, s0
	s_addc_u32 s3, s7, s0
	s_xor_b64 s[16:17], s[2:3], s[0:1]
	v_cvt_f32_u32_e32 v5, s16
	v_cvt_f32_u32_e32 v6, s17
	s_sub_u32 s2, 0, s16
	s_subb_u32 s3, 0, s17
	v_ashrrev_i32_e32 v9, 31, v8
	v_madmk_f32 v5, v6, 0x4f800000, v5
	v_rcp_f32_e32 v5, v5
	v_mul_f32_e32 v5, 0x5f7ffffc, v5
	v_mul_f32_e32 v6, 0x2f800000, v5
	v_trunc_f32_e32 v6, v6
	v_madmk_f32 v5, v6, 0xcf800000, v5
	v_cvt_u32_f32_e32 v6, v6
	v_cvt_u32_f32_e32 v5, v5
	v_readfirstlane_b32 s18, v6
	v_readfirstlane_b32 s0, v5
	s_mul_i32 s1, s2, s18
	s_mul_hi_u32 s20, s2, s0
	s_mul_i32 s19, s3, s0
	s_add_i32 s1, s20, s1
	s_add_i32 s1, s1, s19
	s_mul_i32 s21, s2, s0
	s_mul_i32 s20, s0, s1
	s_mul_hi_u32 s22, s0, s21
	s_mul_hi_u32 s19, s0, s1
	s_add_u32 s20, s22, s20
	s_addc_u32 s19, 0, s19
	s_mul_hi_u32 s23, s18, s21
	s_mul_i32 s21, s18, s21
	s_add_u32 s20, s20, s21
	s_mul_hi_u32 s22, s18, s1
	s_addc_u32 s19, s19, s23
	s_addc_u32 s20, s22, 0
	s_mul_i32 s1, s18, s1
	s_add_u32 s1, s19, s1
	s_addc_u32 s19, 0, s20
	s_add_u32 s20, s0, s1
	s_cselect_b64 s[0:1], -1, 0
	s_cmp_lg_u64 s[0:1], 0
	s_addc_u32 s18, s18, s19
	s_mul_i32 s0, s2, s18
	s_mul_hi_u32 s1, s2, s20
	s_add_i32 s0, s1, s0
	s_mul_i32 s3, s3, s20
	s_add_i32 s0, s0, s3
	s_mul_i32 s2, s2, s20
	s_mul_hi_u32 s3, s18, s2
	s_mul_i32 s19, s18, s2
	s_mul_i32 s22, s20, s0
	s_mul_hi_u32 s2, s20, s2
	s_mul_hi_u32 s21, s20, s0
	s_add_u32 s2, s2, s22
	s_addc_u32 s21, 0, s21
	s_add_u32 s2, s2, s19
	s_mul_hi_u32 s1, s18, s0
	s_addc_u32 s2, s21, s3
	s_addc_u32 s1, s1, 0
	s_mul_i32 s0, s18, s0
	s_add_u32 s0, s2, s0
	s_addc_u32 s2, 0, s1
	s_add_u32 s3, s20, s0
	s_cselect_b64 s[0:1], -1, 0
	s_cmp_lg_u64 s[0:1], 0
	v_add_co_u32_e32 v5, vcc, v7, v9
	s_addc_u32 s2, s18, s2
	v_xor_b32_e32 v10, v5, v9
	v_addc_co_u32_e32 v7, vcc, v8, v9, vcc
	v_mad_u64_u32 v[5:6], s[0:1], v10, s2, 0
	v_mul_hi_u32 v8, v10, s3
	v_xor_b32_e32 v11, v7, v9
	v_add_co_u32_e32 v12, vcc, v8, v5
	v_addc_co_u32_e32 v13, vcc, 0, v6, vcc
	v_mad_u64_u32 v[5:6], s[0:1], v11, s3, 0
	v_mad_u64_u32 v[7:8], s[0:1], v11, s2, 0
	v_add_co_u32_e32 v5, vcc, v12, v5
	v_addc_co_u32_e32 v5, vcc, v13, v6, vcc
	v_addc_co_u32_e32 v6, vcc, 0, v8, vcc
	v_add_co_u32_e32 v5, vcc, v5, v7
	v_addc_co_u32_e32 v6, vcc, 0, v6, vcc
	v_mul_lo_u32 v7, s17, v5
	v_mul_lo_u32 v8, s16, v6
	v_mad_u64_u32 v[5:6], s[0:1], s16, v5, 0
	v_add3_u32 v6, v6, v8, v7
	v_sub_u32_e32 v7, v11, v6
	v_mov_b32_e32 v8, s17
	v_sub_co_u32_e32 v5, vcc, v10, v5
	v_subb_co_u32_e64 v7, s[0:1], v7, v8, vcc
	v_subrev_co_u32_e64 v10, s[0:1], s16, v5
	v_subbrev_co_u32_e64 v12, s[2:3], 0, v7, s[0:1]
	v_cmp_le_u32_e64 s[2:3], s17, v12
	v_cndmask_b32_e64 v13, 0, -1, s[2:3]
	v_cmp_le_u32_e64 s[2:3], s16, v10
	v_subb_co_u32_e64 v7, s[0:1], v7, v8, s[0:1]
	v_cndmask_b32_e64 v14, 0, -1, s[2:3]
	v_cmp_eq_u32_e64 s[2:3], s17, v12
	v_subrev_co_u32_e64 v8, s[0:1], s16, v10
	v_subb_co_u32_e32 v6, vcc, v11, v6, vcc
	v_cndmask_b32_e64 v13, v13, v14, s[2:3]
	v_subbrev_co_u32_e64 v7, s[0:1], 0, v7, s[0:1]
	v_cmp_le_u32_e32 vcc, s17, v6
	v_cmp_ne_u32_e64 s[0:1], 0, v13
	v_cndmask_b32_e64 v11, 0, -1, vcc
	v_cmp_le_u32_e32 vcc, s16, v5
	v_cndmask_b32_e64 v7, v12, v7, s[0:1]
	v_cndmask_b32_e64 v12, 0, -1, vcc
	v_cmp_eq_u32_e32 vcc, s17, v6
	v_cndmask_b32_e32 v11, v11, v12, vcc
	v_cmp_ne_u32_e32 vcc, 0, v11
	v_cndmask_b32_e32 v6, v6, v7, vcc
	v_cndmask_b32_e64 v7, v10, v8, s[0:1]
	v_cndmask_b32_e32 v5, v5, v7, vcc
	v_xor_b32_e32 v5, v5, v9
	v_xor_b32_e32 v6, v6, v9
	v_sub_co_u32_e32 v5, vcc, v5, v9
	v_subb_co_u32_e32 v6, vcc, v6, v9, vcc
                                        ; implicit-def: $vgpr7_vgpr8
.LBB0_13:
	s_andn2_saveexec_b64 s[0:1], s[14:15]
	s_cbranch_execz .LBB0_15
; %bb.14:
	v_cvt_f32_u32_e32 v5, s6
	s_sub_i32 s2, 0, s6
	v_rcp_iflag_f32_e32 v5, v5
	v_mul_f32_e32 v5, 0x4f7ffffe, v5
	v_cvt_u32_f32_e32 v5, v5
	v_mul_lo_u32 v6, s2, v5
	v_mul_hi_u32 v6, v5, v6
	v_add_u32_e32 v5, v5, v6
	v_mul_hi_u32 v5, v7, v5
	v_mul_lo_u32 v5, v5, s6
	v_sub_u32_e32 v5, v7, v5
	v_subrev_u32_e32 v6, s6, v5
	v_cmp_le_u32_e32 vcc, s6, v5
	v_cndmask_b32_e32 v5, v5, v6, vcc
	v_subrev_u32_e32 v6, s6, v5
	v_cmp_le_u32_e32 vcc, s6, v5
	v_cndmask_b32_e32 v5, v5, v6, vcc
	v_mov_b32_e32 v6, 0
.LBB0_15:
	s_or_b64 exec, exec, s[0:1]
	s_mul_i32 s0, s12, s7
	s_mul_hi_u32 s1, s12, s6
	s_add_i32 s0, s1, s0
	s_mul_i32 s1, s13, s6
	s_add_i32 s1, s0, s1
	s_mov_b32 s0, 0
	s_cmp_lg_u64 s[0:1], 0
	s_mul_i32 s16, s12, s6
	s_cbranch_scc0 .LBB0_24
; %bb.16:
	s_ashr_i32 s2, s1, 31
	s_add_u32 s0, s16, s2
	s_mov_b32 s3, s2
	s_addc_u32 s1, s1, s2
	s_xor_b64 s[12:13], s[0:1], s[2:3]
	v_cvt_f32_u32_e32 v7, s12
	v_cvt_f32_u32_e32 v8, s13
	s_sub_u32 s3, 0, s12
	s_subb_u32 s14, 0, s13
	v_add_co_u32_e32 v11, vcc, 0, v0
	v_madmk_f32 v7, v8, 0x4f800000, v7
	v_rcp_f32_e32 v7, v7
	v_mul_f32_e32 v7, 0x5f7ffffc, v7
	v_mul_f32_e32 v8, 0x2f800000, v7
	v_trunc_f32_e32 v8, v8
	v_madmk_f32 v7, v8, 0xcf800000, v7
	v_cvt_u32_f32_e32 v8, v8
	v_cvt_u32_f32_e32 v7, v7
	v_readfirstlane_b32 s15, v8
	v_readfirstlane_b32 s0, v7
	s_mul_i32 s1, s3, s15
	s_mul_hi_u32 s18, s3, s0
	s_mul_i32 s17, s14, s0
	s_add_i32 s1, s18, s1
	s_add_i32 s1, s1, s17
	s_mul_i32 s19, s3, s0
	s_mul_i32 s18, s0, s1
	s_mul_hi_u32 s20, s0, s19
	s_mul_hi_u32 s17, s0, s1
	s_add_u32 s18, s20, s18
	s_addc_u32 s17, 0, s17
	s_mul_hi_u32 s21, s15, s19
	s_mul_i32 s19, s15, s19
	s_add_u32 s18, s18, s19
	s_mul_hi_u32 s20, s15, s1
	s_addc_u32 s17, s17, s21
	s_addc_u32 s18, s20, 0
	s_mul_i32 s1, s15, s1
	s_add_u32 s1, s17, s1
	s_addc_u32 s17, 0, s18
	s_add_u32 s18, s0, s1
	s_cselect_b64 s[0:1], -1, 0
	s_cmp_lg_u64 s[0:1], 0
	s_addc_u32 s15, s15, s17
	s_mul_i32 s0, s3, s15
	s_mul_hi_u32 s1, s3, s18
	s_add_i32 s0, s1, s0
	s_mul_i32 s14, s14, s18
	s_add_i32 s0, s0, s14
	s_mul_i32 s3, s3, s18
	s_mul_hi_u32 s14, s15, s3
	s_mul_i32 s17, s15, s3
	s_mul_i32 s20, s18, s0
	s_mul_hi_u32 s3, s18, s3
	s_mul_hi_u32 s19, s18, s0
	s_add_u32 s3, s3, s20
	s_addc_u32 s19, 0, s19
	s_add_u32 s3, s3, s17
	s_mul_hi_u32 s1, s15, s0
	s_addc_u32 s3, s19, s14
	s_addc_u32 s1, s1, 0
	s_mul_i32 s0, s15, s0
	s_add_u32 s0, s3, s0
	s_addc_u32 s3, 0, s1
	s_add_u32 s14, s18, s0
	s_cselect_b64 s[0:1], -1, 0
	s_cmp_lg_u64 s[0:1], 0
	s_addc_u32 s3, s15, s3
	v_mad_u64_u32 v[7:8], s[0:1], v11, s3, 0
	v_mul_hi_u32 v9, v11, s14
	v_addc_co_u32_e64 v12, s[0:1], 0, 0, vcc
	v_add_co_u32_e32 v13, vcc, v9, v7
	v_addc_co_u32_e32 v14, vcc, 0, v8, vcc
	v_mad_u64_u32 v[7:8], s[0:1], v12, s14, 0
	v_mad_u64_u32 v[9:10], s[0:1], v12, s3, 0
	v_add_co_u32_e32 v7, vcc, v13, v7
	v_addc_co_u32_e32 v7, vcc, v14, v8, vcc
	v_addc_co_u32_e32 v8, vcc, 0, v10, vcc
	v_add_co_u32_e32 v9, vcc, v7, v9
	v_addc_co_u32_e32 v10, vcc, 0, v8, vcc
	v_mul_lo_u32 v13, s13, v9
	v_mul_lo_u32 v14, s12, v10
	v_mad_u64_u32 v[7:8], s[0:1], s12, v9, 0
	v_add3_u32 v8, v8, v14, v13
	v_sub_u32_e32 v13, v12, v8
	v_mov_b32_e32 v14, s13
	v_sub_co_u32_e32 v7, vcc, v11, v7
	v_subb_co_u32_e64 v11, s[0:1], v13, v14, vcc
	v_subrev_co_u32_e64 v13, s[0:1], s12, v7
	v_subbrev_co_u32_e64 v11, s[0:1], 0, v11, s[0:1]
	v_cmp_le_u32_e64 s[0:1], s13, v11
	v_cndmask_b32_e64 v14, 0, -1, s[0:1]
	v_cmp_le_u32_e64 s[0:1], s12, v13
	v_cndmask_b32_e64 v13, 0, -1, s[0:1]
	v_cmp_eq_u32_e64 s[0:1], s13, v11
	v_cndmask_b32_e64 v11, v14, v13, s[0:1]
	v_add_co_u32_e64 v13, s[0:1], 2, v9
	v_subb_co_u32_e32 v8, vcc, v12, v8, vcc
	v_addc_co_u32_e64 v14, s[0:1], 0, v10, s[0:1]
	v_cmp_le_u32_e32 vcc, s13, v8
	v_add_co_u32_e64 v15, s[0:1], 1, v9
	v_cndmask_b32_e64 v12, 0, -1, vcc
	v_cmp_le_u32_e32 vcc, s12, v7
	v_addc_co_u32_e64 v16, s[0:1], 0, v10, s[0:1]
	v_cndmask_b32_e64 v7, 0, -1, vcc
	v_cmp_eq_u32_e32 vcc, s13, v8
	v_cmp_ne_u32_e64 s[0:1], 0, v11
	v_cndmask_b32_e32 v7, v12, v7, vcc
	v_cndmask_b32_e64 v11, v16, v14, s[0:1]
	v_cmp_ne_u32_e32 vcc, 0, v7
	v_cndmask_b32_e64 v8, v15, v13, s[0:1]
	v_cndmask_b32_e32 v7, v10, v11, vcc
	v_cndmask_b32_e32 v8, v9, v8, vcc
	v_xor_b32_e32 v9, s2, v7
	v_xor_b32_e32 v7, s2, v8
	v_mov_b32_e32 v8, s2
	v_subrev_co_u32_e32 v7, vcc, s2, v7
	v_subb_co_u32_e32 v8, vcc, v9, v8, vcc
	s_load_dwordx2 s[0:1], s[4:5], 0x0
	s_cbranch_execnz .LBB0_18
.LBB0_17:
	v_cvt_f32_u32_e32 v7, s16
	s_sub_i32 s2, 0, s16
	v_rcp_iflag_f32_e32 v7, v7
	v_mul_f32_e32 v7, 0x4f7ffffe, v7
	v_cvt_u32_f32_e32 v7, v7
	v_mul_lo_u32 v8, s2, v7
	v_mul_hi_u32 v8, v7, v8
	v_add_u32_e32 v7, v7, v8
	v_mul_hi_u32 v7, v0, v7
	v_mul_lo_u32 v8, v7, s16
	v_add_u32_e32 v9, 1, v7
	v_sub_u32_e32 v8, v0, v8
	v_subrev_u32_e32 v10, s16, v8
	v_cmp_le_u32_e32 vcc, s16, v8
	v_cndmask_b32_e32 v8, v8, v10, vcc
	v_cndmask_b32_e32 v7, v7, v9, vcc
	v_add_u32_e32 v9, 1, v7
	v_cmp_le_u32_e32 vcc, s16, v8
	v_cndmask_b32_e32 v7, v7, v9, vcc
	v_mov_b32_e32 v8, 0
.LBB0_18:
	v_mul_lo_u32 v9, v2, s8
	v_mul_lo_u32 v10, v1, s9
	v_mad_u64_u32 v[1:2], s[2:3], v1, s8, 0
	v_mad_u64_u32 v[5:6], s[2:3], v7, s6, v[5:6]
	v_mul_lo_u32 v7, v7, s7
	v_mul_lo_u32 v8, v8, s6
	v_add3_u32 v2, v2, v10, v9
	v_sub_co_u32_e32 v0, vcc, v0, v1
	v_subb_co_u32_e32 v1, vcc, 0, v2, vcc
	v_cmp_eq_u64_e32 vcc, v[0:1], v[3:4]
	v_lshlrev_b64 v[0:1], 2, v[0:1]
	v_add3_u32 v2, v8, v6, v7
	v_mov_b32_e32 v6, 0
	s_and_saveexec_b64 s[2:3], vcc
	s_cbranch_execz .LBB0_20
; %bb.19:
	v_mul_lo_u32 v8, v2, s8
	v_mul_lo_u32 v9, v5, s9
	v_mad_u64_u32 v[6:7], s[6:7], v5, s8, 0
	s_load_dwordx2 s[4:5], s[4:5], 0x8
	v_add3_u32 v7, v7, v9, v8
	v_lshlrev_b64 v[6:7], 2, v[6:7]
	s_waitcnt lgkmcnt(0)
	v_mov_b32_e32 v8, s5
	v_add_co_u32_e32 v6, vcc, s4, v6
	v_addc_co_u32_e32 v7, vcc, v8, v7, vcc
	v_add_co_u32_e32 v6, vcc, v6, v0
	v_addc_co_u32_e32 v7, vcc, v7, v1, vcc
	global_load_dword v6, v[6:7], off
.LBB0_20:
	s_or_b64 exec, exec, s[2:3]
	v_mad_u64_u32 v[3:4], s[2:3], v5, s10, v[3:4]
	v_mul_lo_u32 v5, v5, s11
	v_mul_lo_u32 v2, v2, s10
	v_add3_u32 v4, v2, v4, v5
	v_mul_lo_u32 v5, v3, s9
	v_mad_u64_u32 v[2:3], s[2:3], v3, s8, 0
	v_mul_lo_u32 v4, v4, s8
	v_add3_u32 v3, v3, v5, v4
	v_lshlrev_b64 v[2:3], 2, v[2:3]
	s_waitcnt lgkmcnt(0)
	v_mov_b32_e32 v4, s1
	v_add_co_u32_e32 v2, vcc, s0, v2
	v_addc_co_u32_e32 v3, vcc, v4, v3, vcc
	v_add_co_u32_e32 v0, vcc, v2, v0
	v_addc_co_u32_e32 v1, vcc, v3, v1, vcc
	s_waitcnt vmcnt(0)
	global_store_dword v[0:1], v6, off
.LBB0_21:
	s_endpgm
.LBB0_22:
                                        ; implicit-def: $vgpr1_vgpr2
	s_branch .LBB0_3
.LBB0_23:
                                        ; implicit-def: $vgpr7_vgpr8
	s_branch .LBB0_10
.LBB0_24:
                                        ; implicit-def: $vgpr7_vgpr8
	s_load_dwordx2 s[0:1], s[4:5], 0x0
	s_branch .LBB0_17
	.section	.rodata,"a",@progbits
	.p2align	6, 0x0
	.amdhsa_kernel _ZL11diag_kernelIfEvPT_PKS0_lllll
		.amdhsa_group_segment_fixed_size 0
		.amdhsa_private_segment_fixed_size 0
		.amdhsa_kernarg_size 312
		.amdhsa_user_sgpr_count 6
		.amdhsa_user_sgpr_private_segment_buffer 1
		.amdhsa_user_sgpr_dispatch_ptr 0
		.amdhsa_user_sgpr_queue_ptr 0
		.amdhsa_user_sgpr_kernarg_segment_ptr 1
		.amdhsa_user_sgpr_dispatch_id 0
		.amdhsa_user_sgpr_flat_scratch_init 0
		.amdhsa_user_sgpr_private_segment_size 0
		.amdhsa_uses_dynamic_stack 0
		.amdhsa_system_sgpr_private_segment_wavefront_offset 0
		.amdhsa_system_sgpr_workgroup_id_x 1
		.amdhsa_system_sgpr_workgroup_id_y 0
		.amdhsa_system_sgpr_workgroup_id_z 0
		.amdhsa_system_sgpr_workgroup_info 0
		.amdhsa_system_vgpr_workitem_id 0
		.amdhsa_next_free_vgpr 17
		.amdhsa_next_free_sgpr 24
		.amdhsa_reserve_vcc 1
		.amdhsa_reserve_flat_scratch 0
		.amdhsa_float_round_mode_32 0
		.amdhsa_float_round_mode_16_64 0
		.amdhsa_float_denorm_mode_32 3
		.amdhsa_float_denorm_mode_16_64 3
		.amdhsa_dx10_clamp 1
		.amdhsa_ieee_mode 1
		.amdhsa_fp16_overflow 0
		.amdhsa_exception_fp_ieee_invalid_op 0
		.amdhsa_exception_fp_denorm_src 0
		.amdhsa_exception_fp_ieee_div_zero 0
		.amdhsa_exception_fp_ieee_overflow 0
		.amdhsa_exception_fp_ieee_underflow 0
		.amdhsa_exception_fp_ieee_inexact 0
		.amdhsa_exception_int_div_zero 0
	.end_amdhsa_kernel
	.section	.text._ZL11diag_kernelIfEvPT_PKS0_lllll,"axG",@progbits,_ZL11diag_kernelIfEvPT_PKS0_lllll,comdat
.Lfunc_end0:
	.size	_ZL11diag_kernelIfEvPT_PKS0_lllll, .Lfunc_end0-_ZL11diag_kernelIfEvPT_PKS0_lllll
                                        ; -- End function
	.set _ZL11diag_kernelIfEvPT_PKS0_lllll.num_vgpr, 17
	.set _ZL11diag_kernelIfEvPT_PKS0_lllll.num_agpr, 0
	.set _ZL11diag_kernelIfEvPT_PKS0_lllll.numbered_sgpr, 24
	.set _ZL11diag_kernelIfEvPT_PKS0_lllll.num_named_barrier, 0
	.set _ZL11diag_kernelIfEvPT_PKS0_lllll.private_seg_size, 0
	.set _ZL11diag_kernelIfEvPT_PKS0_lllll.uses_vcc, 1
	.set _ZL11diag_kernelIfEvPT_PKS0_lllll.uses_flat_scratch, 0
	.set _ZL11diag_kernelIfEvPT_PKS0_lllll.has_dyn_sized_stack, 0
	.set _ZL11diag_kernelIfEvPT_PKS0_lllll.has_recursion, 0
	.set _ZL11diag_kernelIfEvPT_PKS0_lllll.has_indirect_call, 0
	.section	.AMDGPU.csdata,"",@progbits
; Kernel info:
; codeLenInByte = 4060
; TotalNumSgprs: 28
; NumVgprs: 17
; ScratchSize: 0
; MemoryBound: 0
; FloatMode: 240
; IeeeMode: 1
; LDSByteSize: 0 bytes/workgroup (compile time only)
; SGPRBlocks: 3
; VGPRBlocks: 4
; NumSGPRsForWavesPerEU: 28
; NumVGPRsForWavesPerEU: 17
; Occupancy: 10
; WaveLimiterHint : 0
; COMPUTE_PGM_RSRC2:SCRATCH_EN: 0
; COMPUTE_PGM_RSRC2:USER_SGPR: 6
; COMPUTE_PGM_RSRC2:TRAP_HANDLER: 0
; COMPUTE_PGM_RSRC2:TGID_X_EN: 1
; COMPUTE_PGM_RSRC2:TGID_Y_EN: 0
; COMPUTE_PGM_RSRC2:TGID_Z_EN: 0
; COMPUTE_PGM_RSRC2:TIDIG_COMP_CNT: 0
	.section	.text._ZL11diag_kernelI6__halfEvPT_PKS1_lllll,"axG",@progbits,_ZL11diag_kernelI6__halfEvPT_PKS1_lllll,comdat
	.globl	_ZL11diag_kernelI6__halfEvPT_PKS1_lllll ; -- Begin function _ZL11diag_kernelI6__halfEvPT_PKS1_lllll
	.p2align	8
	.type	_ZL11diag_kernelI6__halfEvPT_PKS1_lllll,@function
_ZL11diag_kernelI6__halfEvPT_PKS1_lllll: ; @_ZL11diag_kernelI6__halfEvPT_PKS1_lllll
; %bb.0:
	s_load_dword s2, s[4:5], 0x44
	s_load_dwordx2 s[0:1], s[4:5], 0x30
	v_mov_b32_e32 v1, 0
	s_waitcnt lgkmcnt(0)
	s_and_b32 s2, s2, 0xffff
	s_mul_i32 s6, s6, s2
	v_add_u32_e32 v0, s6, v0
	v_cmp_gt_i64_e32 vcc, s[0:1], v[0:1]
	s_and_saveexec_b64 s[0:1], vcc
	s_cbranch_execz .LBB1_22
; %bb.1:
	s_load_dwordx4 s[8:11], s[4:5], 0x10
	s_load_dwordx2 s[6:7], s[4:5], 0x20
	s_mov_b32 s0, 0
	s_waitcnt lgkmcnt(0)
	s_mov_b32 s1, s9
	s_cmp_lg_u64 s[0:1], 0
	s_cbranch_scc0 .LBB1_23
; %bb.2:
	s_ashr_i32 s2, s9, 31
	s_add_u32 s0, s8, s2
	s_mov_b32 s3, s2
	s_addc_u32 s1, s9, s2
	s_xor_b64 s[12:13], s[0:1], s[2:3]
	v_cvt_f32_u32_e32 v1, s12
	v_cvt_f32_u32_e32 v2, s13
	s_sub_u32 s3, 0, s12
	s_subb_u32 s14, 0, s13
	v_add_co_u32_e32 v5, vcc, 0, v0
	v_madmk_f32 v1, v2, 0x4f800000, v1
	v_rcp_f32_e32 v1, v1
	v_mul_f32_e32 v1, 0x5f7ffffc, v1
	v_mul_f32_e32 v2, 0x2f800000, v1
	v_trunc_f32_e32 v2, v2
	v_madmk_f32 v1, v2, 0xcf800000, v1
	v_cvt_u32_f32_e32 v2, v2
	v_cvt_u32_f32_e32 v1, v1
	v_readfirstlane_b32 s15, v2
	v_readfirstlane_b32 s0, v1
	s_mul_i32 s1, s3, s15
	s_mul_hi_u32 s17, s3, s0
	s_mul_i32 s16, s14, s0
	s_add_i32 s1, s17, s1
	s_add_i32 s1, s1, s16
	s_mul_i32 s18, s3, s0
	s_mul_i32 s17, s0, s1
	s_mul_hi_u32 s19, s0, s18
	s_mul_hi_u32 s16, s0, s1
	s_add_u32 s17, s19, s17
	s_addc_u32 s16, 0, s16
	s_mul_hi_u32 s20, s15, s18
	s_mul_i32 s18, s15, s18
	s_add_u32 s17, s17, s18
	s_mul_hi_u32 s19, s15, s1
	s_addc_u32 s16, s16, s20
	s_addc_u32 s17, s19, 0
	s_mul_i32 s1, s15, s1
	s_add_u32 s1, s16, s1
	s_addc_u32 s16, 0, s17
	s_add_u32 s17, s0, s1
	s_cselect_b64 s[0:1], -1, 0
	s_cmp_lg_u64 s[0:1], 0
	s_addc_u32 s15, s15, s16
	s_mul_i32 s0, s3, s15
	s_mul_hi_u32 s1, s3, s17
	s_add_i32 s0, s1, s0
	s_mul_i32 s14, s14, s17
	s_add_i32 s0, s0, s14
	s_mul_i32 s3, s3, s17
	s_mul_hi_u32 s14, s15, s3
	s_mul_i32 s16, s15, s3
	s_mul_i32 s19, s17, s0
	s_mul_hi_u32 s3, s17, s3
	s_mul_hi_u32 s18, s17, s0
	s_add_u32 s3, s3, s19
	s_addc_u32 s18, 0, s18
	s_add_u32 s3, s3, s16
	s_mul_hi_u32 s1, s15, s0
	s_addc_u32 s3, s18, s14
	s_addc_u32 s1, s1, 0
	s_mul_i32 s0, s15, s0
	s_add_u32 s0, s3, s0
	s_addc_u32 s3, 0, s1
	s_add_u32 s14, s17, s0
	s_cselect_b64 s[0:1], -1, 0
	s_cmp_lg_u64 s[0:1], 0
	s_addc_u32 s3, s15, s3
	v_mad_u64_u32 v[1:2], s[0:1], v5, s3, 0
	v_mul_hi_u32 v3, v5, s14
	v_addc_co_u32_e64 v6, s[0:1], 0, 0, vcc
	v_add_co_u32_e32 v7, vcc, v3, v1
	v_addc_co_u32_e32 v8, vcc, 0, v2, vcc
	v_mad_u64_u32 v[1:2], s[0:1], v6, s14, 0
	v_mad_u64_u32 v[3:4], s[0:1], v6, s3, 0
	v_add_co_u32_e32 v1, vcc, v7, v1
	v_addc_co_u32_e32 v1, vcc, v8, v2, vcc
	v_addc_co_u32_e32 v2, vcc, 0, v4, vcc
	v_add_co_u32_e32 v3, vcc, v1, v3
	v_addc_co_u32_e32 v4, vcc, 0, v2, vcc
	v_mul_lo_u32 v7, s13, v3
	v_mul_lo_u32 v8, s12, v4
	v_mad_u64_u32 v[1:2], s[0:1], s12, v3, 0
	v_add3_u32 v2, v2, v8, v7
	v_sub_u32_e32 v7, v6, v2
	v_mov_b32_e32 v8, s13
	v_sub_co_u32_e32 v1, vcc, v5, v1
	v_subb_co_u32_e64 v5, s[0:1], v7, v8, vcc
	v_subrev_co_u32_e64 v7, s[0:1], s12, v1
	v_subbrev_co_u32_e64 v5, s[0:1], 0, v5, s[0:1]
	v_cmp_le_u32_e64 s[0:1], s13, v5
	v_cndmask_b32_e64 v8, 0, -1, s[0:1]
	v_cmp_le_u32_e64 s[0:1], s12, v7
	v_cndmask_b32_e64 v7, 0, -1, s[0:1]
	v_cmp_eq_u32_e64 s[0:1], s13, v5
	v_cndmask_b32_e64 v5, v8, v7, s[0:1]
	v_add_co_u32_e64 v7, s[0:1], 2, v3
	v_subb_co_u32_e32 v2, vcc, v6, v2, vcc
	v_addc_co_u32_e64 v8, s[0:1], 0, v4, s[0:1]
	v_cmp_le_u32_e32 vcc, s13, v2
	v_add_co_u32_e64 v9, s[0:1], 1, v3
	v_cndmask_b32_e64 v6, 0, -1, vcc
	v_cmp_le_u32_e32 vcc, s12, v1
	v_addc_co_u32_e64 v10, s[0:1], 0, v4, s[0:1]
	v_cndmask_b32_e64 v1, 0, -1, vcc
	v_cmp_eq_u32_e32 vcc, s13, v2
	v_cmp_ne_u32_e64 s[0:1], 0, v5
	v_cndmask_b32_e32 v1, v6, v1, vcc
	v_cndmask_b32_e64 v5, v10, v8, s[0:1]
	v_cmp_ne_u32_e32 vcc, 0, v1
	v_cndmask_b32_e64 v2, v9, v7, s[0:1]
	v_cndmask_b32_e32 v1, v4, v5, vcc
	v_cndmask_b32_e32 v2, v3, v2, vcc
	v_xor_b32_e32 v3, s2, v1
	v_xor_b32_e32 v1, s2, v2
	v_mov_b32_e32 v2, s2
	v_subrev_co_u32_e32 v1, vcc, s2, v1
	v_subb_co_u32_e32 v2, vcc, v3, v2, vcc
	s_cbranch_execnz .LBB1_4
.LBB1_3:
	v_cvt_f32_u32_e32 v1, s8
	s_sub_i32 s0, 0, s8
	v_rcp_iflag_f32_e32 v1, v1
	v_mul_f32_e32 v1, 0x4f7ffffe, v1
	v_cvt_u32_f32_e32 v1, v1
	v_mul_lo_u32 v2, s0, v1
	v_mul_hi_u32 v2, v1, v2
	v_add_u32_e32 v1, v1, v2
	v_mul_hi_u32 v1, v0, v1
	v_mul_lo_u32 v2, v1, s8
	v_add_u32_e32 v3, 1, v1
	v_sub_u32_e32 v2, v0, v2
	v_subrev_u32_e32 v4, s8, v2
	v_cmp_le_u32_e32 vcc, s8, v2
	v_cndmask_b32_e32 v2, v2, v4, vcc
	v_cndmask_b32_e32 v1, v1, v3, vcc
	v_add_u32_e32 v3, 1, v1
	v_cmp_le_u32_e32 vcc, s8, v2
	v_cndmask_b32_e32 v1, v1, v3, vcc
	v_mov_b32_e32 v2, 0
.LBB1_4:
	v_or_b32_e32 v4, s11, v2
	v_mov_b32_e32 v3, 0
	v_cmp_ne_u64_e32 vcc, 0, v[3:4]
                                        ; implicit-def: $vgpr3_vgpr4
	s_and_saveexec_b64 s[0:1], vcc
	s_xor_b64 s[12:13], exec, s[0:1]
	s_cbranch_execz .LBB1_6
; %bb.5:
	s_ashr_i32 s0, s11, 31
	s_add_u32 s2, s10, s0
	s_mov_b32 s1, s0
	s_addc_u32 s3, s11, s0
	s_xor_b64 s[14:15], s[2:3], s[0:1]
	v_cvt_f32_u32_e32 v3, s14
	v_cvt_f32_u32_e32 v4, s15
	s_sub_u32 s2, 0, s14
	s_subb_u32 s3, 0, s15
	v_ashrrev_i32_e32 v7, 31, v2
	v_madmk_f32 v3, v4, 0x4f800000, v3
	v_rcp_f32_e32 v3, v3
	v_mul_f32_e32 v3, 0x5f7ffffc, v3
	v_mul_f32_e32 v4, 0x2f800000, v3
	v_trunc_f32_e32 v4, v4
	v_madmk_f32 v3, v4, 0xcf800000, v3
	v_cvt_u32_f32_e32 v4, v4
	v_cvt_u32_f32_e32 v3, v3
	v_readfirstlane_b32 s16, v4
	v_readfirstlane_b32 s0, v3
	s_mul_i32 s1, s2, s16
	s_mul_hi_u32 s18, s2, s0
	s_mul_i32 s17, s3, s0
	s_add_i32 s1, s18, s1
	s_add_i32 s1, s1, s17
	s_mul_i32 s19, s2, s0
	s_mul_i32 s18, s0, s1
	s_mul_hi_u32 s20, s0, s19
	s_mul_hi_u32 s17, s0, s1
	s_add_u32 s18, s20, s18
	s_addc_u32 s17, 0, s17
	s_mul_hi_u32 s21, s16, s19
	s_mul_i32 s19, s16, s19
	s_add_u32 s18, s18, s19
	s_mul_hi_u32 s20, s16, s1
	s_addc_u32 s17, s17, s21
	s_addc_u32 s18, s20, 0
	s_mul_i32 s1, s16, s1
	s_add_u32 s1, s17, s1
	s_addc_u32 s17, 0, s18
	s_add_u32 s18, s0, s1
	s_cselect_b64 s[0:1], -1, 0
	s_cmp_lg_u64 s[0:1], 0
	s_addc_u32 s16, s16, s17
	s_mul_i32 s0, s2, s16
	s_mul_hi_u32 s1, s2, s18
	s_add_i32 s0, s1, s0
	s_mul_i32 s3, s3, s18
	s_add_i32 s0, s0, s3
	s_mul_i32 s2, s2, s18
	s_mul_hi_u32 s3, s16, s2
	s_mul_i32 s17, s16, s2
	s_mul_i32 s20, s18, s0
	s_mul_hi_u32 s2, s18, s2
	s_mul_hi_u32 s19, s18, s0
	s_add_u32 s2, s2, s20
	s_addc_u32 s19, 0, s19
	s_add_u32 s2, s2, s17
	s_mul_hi_u32 s1, s16, s0
	s_addc_u32 s2, s19, s3
	s_addc_u32 s1, s1, 0
	s_mul_i32 s0, s16, s0
	s_add_u32 s0, s2, s0
	s_addc_u32 s2, 0, s1
	s_add_u32 s3, s18, s0
	s_cselect_b64 s[0:1], -1, 0
	s_cmp_lg_u64 s[0:1], 0
	v_add_co_u32_e32 v3, vcc, v1, v7
	s_addc_u32 s2, s16, s2
	v_xor_b32_e32 v8, v3, v7
	v_mad_u64_u32 v[3:4], s[0:1], v8, s2, 0
	v_mul_hi_u32 v6, v8, s3
	v_addc_co_u32_e32 v5, vcc, v2, v7, vcc
	v_xor_b32_e32 v9, v5, v7
	v_add_co_u32_e32 v10, vcc, v6, v3
	v_addc_co_u32_e32 v11, vcc, 0, v4, vcc
	v_mad_u64_u32 v[3:4], s[0:1], v9, s3, 0
	v_mad_u64_u32 v[5:6], s[0:1], v9, s2, 0
	v_add_co_u32_e32 v3, vcc, v10, v3
	v_addc_co_u32_e32 v3, vcc, v11, v4, vcc
	v_addc_co_u32_e32 v4, vcc, 0, v6, vcc
	v_add_co_u32_e32 v3, vcc, v3, v5
	v_addc_co_u32_e32 v4, vcc, 0, v4, vcc
	v_mul_lo_u32 v5, s15, v3
	v_mul_lo_u32 v6, s14, v4
	v_mad_u64_u32 v[3:4], s[0:1], s14, v3, 0
	v_add3_u32 v4, v4, v6, v5
	v_sub_u32_e32 v5, v9, v4
	v_mov_b32_e32 v6, s15
	v_sub_co_u32_e32 v3, vcc, v8, v3
	v_subb_co_u32_e64 v5, s[0:1], v5, v6, vcc
	v_subrev_co_u32_e64 v8, s[0:1], s14, v3
	v_subbrev_co_u32_e64 v10, s[2:3], 0, v5, s[0:1]
	v_cmp_le_u32_e64 s[2:3], s15, v10
	v_cndmask_b32_e64 v11, 0, -1, s[2:3]
	v_cmp_le_u32_e64 s[2:3], s14, v8
	v_subb_co_u32_e64 v5, s[0:1], v5, v6, s[0:1]
	v_cndmask_b32_e64 v12, 0, -1, s[2:3]
	v_cmp_eq_u32_e64 s[2:3], s15, v10
	v_subrev_co_u32_e64 v6, s[0:1], s14, v8
	v_subb_co_u32_e32 v4, vcc, v9, v4, vcc
	v_cndmask_b32_e64 v11, v11, v12, s[2:3]
	v_subbrev_co_u32_e64 v5, s[0:1], 0, v5, s[0:1]
	v_cmp_le_u32_e32 vcc, s15, v4
	v_cmp_ne_u32_e64 s[0:1], 0, v11
	v_cndmask_b32_e64 v9, 0, -1, vcc
	v_cmp_le_u32_e32 vcc, s14, v3
	v_cndmask_b32_e64 v5, v10, v5, s[0:1]
	v_cndmask_b32_e64 v10, 0, -1, vcc
	v_cmp_eq_u32_e32 vcc, s15, v4
	v_cndmask_b32_e32 v9, v9, v10, vcc
	v_cmp_ne_u32_e32 vcc, 0, v9
	v_cndmask_b32_e32 v4, v4, v5, vcc
	v_cndmask_b32_e64 v5, v8, v6, s[0:1]
	v_cndmask_b32_e32 v3, v3, v5, vcc
	v_xor_b32_e32 v3, v3, v7
	v_xor_b32_e32 v4, v4, v7
	v_sub_co_u32_e32 v3, vcc, v3, v7
	v_subb_co_u32_e32 v4, vcc, v4, v7, vcc
.LBB1_6:
	s_andn2_saveexec_b64 s[0:1], s[12:13]
	s_cbranch_execz .LBB1_8
; %bb.7:
	v_cvt_f32_u32_e32 v3, s10
	s_sub_i32 s2, 0, s10
	v_rcp_iflag_f32_e32 v3, v3
	v_mul_f32_e32 v3, 0x4f7ffffe, v3
	v_cvt_u32_f32_e32 v3, v3
	v_mul_lo_u32 v4, s2, v3
	v_mul_hi_u32 v4, v3, v4
	v_add_u32_e32 v3, v3, v4
	v_mul_hi_u32 v3, v1, v3
	v_mul_lo_u32 v3, v3, s10
	v_sub_u32_e32 v3, v1, v3
	v_subrev_u32_e32 v4, s10, v3
	v_cmp_le_u32_e32 vcc, s10, v3
	v_cndmask_b32_e32 v3, v3, v4, vcc
	v_subrev_u32_e32 v4, s10, v3
	v_cmp_le_u32_e32 vcc, s10, v3
	v_cndmask_b32_e32 v3, v3, v4, vcc
	v_mov_b32_e32 v4, 0
.LBB1_8:
	s_or_b64 exec, exec, s[0:1]
	s_mul_i32 s0, s10, s9
	s_mul_hi_u32 s1, s10, s8
	s_add_i32 s0, s1, s0
	s_mul_i32 s1, s11, s8
	s_add_i32 s13, s0, s1
	s_mov_b32 s12, 0
	s_cmp_lg_u64 s[12:13], 0
	s_mul_i32 s12, s10, s8
	s_cbranch_scc0 .LBB1_24
; %bb.9:
	s_ashr_i32 s2, s13, 31
	s_add_u32 s0, s12, s2
	s_mov_b32 s3, s2
	s_addc_u32 s1, s13, s2
	s_xor_b64 s[14:15], s[0:1], s[2:3]
	v_cvt_f32_u32_e32 v5, s14
	v_cvt_f32_u32_e32 v6, s15
	s_sub_u32 s3, 0, s14
	s_subb_u32 s16, 0, s15
	v_add_co_u32_e32 v9, vcc, 0, v0
	v_madmk_f32 v5, v6, 0x4f800000, v5
	v_rcp_f32_e32 v5, v5
	v_mul_f32_e32 v5, 0x5f7ffffc, v5
	v_mul_f32_e32 v6, 0x2f800000, v5
	v_trunc_f32_e32 v6, v6
	v_madmk_f32 v5, v6, 0xcf800000, v5
	v_cvt_u32_f32_e32 v6, v6
	v_cvt_u32_f32_e32 v5, v5
	v_readfirstlane_b32 s17, v6
	v_readfirstlane_b32 s0, v5
	s_mul_i32 s1, s3, s17
	s_mul_hi_u32 s19, s3, s0
	s_mul_i32 s18, s16, s0
	s_add_i32 s1, s19, s1
	s_add_i32 s1, s1, s18
	s_mul_i32 s20, s3, s0
	s_mul_i32 s19, s0, s1
	s_mul_hi_u32 s21, s0, s20
	s_mul_hi_u32 s18, s0, s1
	s_add_u32 s19, s21, s19
	s_addc_u32 s18, 0, s18
	s_mul_hi_u32 s22, s17, s20
	s_mul_i32 s20, s17, s20
	s_add_u32 s19, s19, s20
	s_mul_hi_u32 s21, s17, s1
	s_addc_u32 s18, s18, s22
	s_addc_u32 s19, s21, 0
	s_mul_i32 s1, s17, s1
	s_add_u32 s1, s18, s1
	s_addc_u32 s18, 0, s19
	s_add_u32 s19, s0, s1
	s_cselect_b64 s[0:1], -1, 0
	s_cmp_lg_u64 s[0:1], 0
	s_addc_u32 s17, s17, s18
	s_mul_i32 s0, s3, s17
	s_mul_hi_u32 s1, s3, s19
	s_add_i32 s0, s1, s0
	s_mul_i32 s16, s16, s19
	s_add_i32 s0, s0, s16
	s_mul_i32 s3, s3, s19
	s_mul_hi_u32 s16, s17, s3
	s_mul_i32 s18, s17, s3
	s_mul_i32 s21, s19, s0
	s_mul_hi_u32 s3, s19, s3
	s_mul_hi_u32 s20, s19, s0
	s_add_u32 s3, s3, s21
	s_addc_u32 s20, 0, s20
	s_add_u32 s3, s3, s18
	s_mul_hi_u32 s1, s17, s0
	s_addc_u32 s3, s20, s16
	s_addc_u32 s1, s1, 0
	s_mul_i32 s0, s17, s0
	s_add_u32 s0, s3, s0
	s_addc_u32 s3, 0, s1
	s_add_u32 s16, s19, s0
	s_cselect_b64 s[0:1], -1, 0
	s_cmp_lg_u64 s[0:1], 0
	s_addc_u32 s3, s17, s3
	v_mad_u64_u32 v[5:6], s[0:1], v9, s3, 0
	v_mul_hi_u32 v7, v9, s16
	v_addc_co_u32_e64 v10, s[0:1], 0, 0, vcc
	v_add_co_u32_e32 v11, vcc, v7, v5
	v_addc_co_u32_e32 v12, vcc, 0, v6, vcc
	v_mad_u64_u32 v[5:6], s[0:1], v10, s16, 0
	v_mad_u64_u32 v[7:8], s[0:1], v10, s3, 0
	v_add_co_u32_e32 v5, vcc, v11, v5
	v_addc_co_u32_e32 v5, vcc, v12, v6, vcc
	v_addc_co_u32_e32 v6, vcc, 0, v8, vcc
	v_add_co_u32_e32 v7, vcc, v5, v7
	v_addc_co_u32_e32 v8, vcc, 0, v6, vcc
	v_mul_lo_u32 v11, s15, v7
	v_mul_lo_u32 v12, s14, v8
	v_mad_u64_u32 v[5:6], s[0:1], s14, v7, 0
	v_add3_u32 v6, v6, v12, v11
	v_sub_u32_e32 v11, v10, v6
	v_mov_b32_e32 v12, s15
	v_sub_co_u32_e32 v5, vcc, v9, v5
	v_subb_co_u32_e64 v9, s[0:1], v11, v12, vcc
	v_subrev_co_u32_e64 v11, s[0:1], s14, v5
	v_subbrev_co_u32_e64 v9, s[0:1], 0, v9, s[0:1]
	v_cmp_le_u32_e64 s[0:1], s15, v9
	v_cndmask_b32_e64 v12, 0, -1, s[0:1]
	v_cmp_le_u32_e64 s[0:1], s14, v11
	v_cndmask_b32_e64 v11, 0, -1, s[0:1]
	v_cmp_eq_u32_e64 s[0:1], s15, v9
	v_cndmask_b32_e64 v9, v12, v11, s[0:1]
	v_add_co_u32_e64 v11, s[0:1], 2, v7
	v_subb_co_u32_e32 v6, vcc, v10, v6, vcc
	v_addc_co_u32_e64 v12, s[0:1], 0, v8, s[0:1]
	v_cmp_le_u32_e32 vcc, s15, v6
	v_add_co_u32_e64 v13, s[0:1], 1, v7
	v_cndmask_b32_e64 v10, 0, -1, vcc
	v_cmp_le_u32_e32 vcc, s14, v5
	v_addc_co_u32_e64 v14, s[0:1], 0, v8, s[0:1]
	v_cndmask_b32_e64 v5, 0, -1, vcc
	v_cmp_eq_u32_e32 vcc, s15, v6
	v_cmp_ne_u32_e64 s[0:1], 0, v9
	v_cndmask_b32_e32 v5, v10, v5, vcc
	v_cmp_ne_u32_e32 vcc, 0, v5
	v_cndmask_b32_e64 v6, v13, v11, s[0:1]
	v_cndmask_b32_e64 v9, v14, v12, s[0:1]
	v_cndmask_b32_e32 v6, v7, v6, vcc
	v_cndmask_b32_e32 v5, v8, v9, vcc
	v_xor_b32_e32 v6, s2, v6
	v_xor_b32_e32 v5, s2, v5
	v_mov_b32_e32 v8, s2
	v_subrev_co_u32_e32 v7, vcc, s2, v6
	v_subb_co_u32_e32 v8, vcc, v5, v8, vcc
	s_cbranch_execnz .LBB1_11
.LBB1_10:
	v_cvt_f32_u32_e32 v5, s12
	s_sub_i32 s0, 0, s12
	v_rcp_iflag_f32_e32 v5, v5
	v_mul_f32_e32 v5, 0x4f7ffffe, v5
	v_cvt_u32_f32_e32 v5, v5
	v_mul_lo_u32 v6, s0, v5
	v_mul_hi_u32 v6, v5, v6
	v_add_u32_e32 v5, v5, v6
	v_mul_hi_u32 v5, v0, v5
	v_mul_lo_u32 v6, v5, s12
	v_add_u32_e32 v7, 1, v5
	v_sub_u32_e32 v6, v0, v6
	v_subrev_u32_e32 v8, s12, v6
	v_cmp_le_u32_e32 vcc, s12, v6
	v_cndmask_b32_e32 v6, v6, v8, vcc
	v_cndmask_b32_e32 v5, v5, v7, vcc
	v_add_u32_e32 v7, 1, v5
	v_cmp_le_u32_e32 vcc, s12, v6
	v_cndmask_b32_e32 v7, v5, v7, vcc
	v_mov_b32_e32 v8, 0
.LBB1_11:
	v_or_b32_e32 v6, s7, v8
	v_mov_b32_e32 v5, 0
	v_cmp_ne_u64_e32 vcc, 0, v[5:6]
                                        ; implicit-def: $vgpr5_vgpr6
	s_and_saveexec_b64 s[0:1], vcc
	s_xor_b64 s[14:15], exec, s[0:1]
	s_cbranch_execz .LBB1_13
; %bb.12:
	s_ashr_i32 s0, s7, 31
	s_add_u32 s2, s6, s0
	s_mov_b32 s1, s0
	s_addc_u32 s3, s7, s0
	s_xor_b64 s[16:17], s[2:3], s[0:1]
	v_cvt_f32_u32_e32 v5, s16
	v_cvt_f32_u32_e32 v6, s17
	s_sub_u32 s2, 0, s16
	s_subb_u32 s3, 0, s17
	v_ashrrev_i32_e32 v9, 31, v8
	v_madmk_f32 v5, v6, 0x4f800000, v5
	v_rcp_f32_e32 v5, v5
	v_mul_f32_e32 v5, 0x5f7ffffc, v5
	v_mul_f32_e32 v6, 0x2f800000, v5
	v_trunc_f32_e32 v6, v6
	v_madmk_f32 v5, v6, 0xcf800000, v5
	v_cvt_u32_f32_e32 v6, v6
	v_cvt_u32_f32_e32 v5, v5
	v_readfirstlane_b32 s18, v6
	v_readfirstlane_b32 s0, v5
	s_mul_i32 s1, s2, s18
	s_mul_hi_u32 s20, s2, s0
	s_mul_i32 s19, s3, s0
	s_add_i32 s1, s20, s1
	s_add_i32 s1, s1, s19
	s_mul_i32 s21, s2, s0
	s_mul_i32 s20, s0, s1
	s_mul_hi_u32 s22, s0, s21
	s_mul_hi_u32 s19, s0, s1
	s_add_u32 s20, s22, s20
	s_addc_u32 s19, 0, s19
	s_mul_hi_u32 s23, s18, s21
	s_mul_i32 s21, s18, s21
	s_add_u32 s20, s20, s21
	s_mul_hi_u32 s22, s18, s1
	s_addc_u32 s19, s19, s23
	s_addc_u32 s20, s22, 0
	s_mul_i32 s1, s18, s1
	s_add_u32 s1, s19, s1
	s_addc_u32 s19, 0, s20
	s_add_u32 s20, s0, s1
	s_cselect_b64 s[0:1], -1, 0
	s_cmp_lg_u64 s[0:1], 0
	s_addc_u32 s18, s18, s19
	s_mul_i32 s0, s2, s18
	s_mul_hi_u32 s1, s2, s20
	s_add_i32 s0, s1, s0
	s_mul_i32 s3, s3, s20
	s_add_i32 s0, s0, s3
	s_mul_i32 s2, s2, s20
	s_mul_hi_u32 s3, s18, s2
	s_mul_i32 s19, s18, s2
	s_mul_i32 s22, s20, s0
	s_mul_hi_u32 s2, s20, s2
	s_mul_hi_u32 s21, s20, s0
	s_add_u32 s2, s2, s22
	s_addc_u32 s21, 0, s21
	s_add_u32 s2, s2, s19
	s_mul_hi_u32 s1, s18, s0
	s_addc_u32 s2, s21, s3
	s_addc_u32 s1, s1, 0
	s_mul_i32 s0, s18, s0
	s_add_u32 s0, s2, s0
	s_addc_u32 s2, 0, s1
	s_add_u32 s3, s20, s0
	s_cselect_b64 s[0:1], -1, 0
	s_cmp_lg_u64 s[0:1], 0
	v_add_co_u32_e32 v5, vcc, v7, v9
	s_addc_u32 s2, s18, s2
	v_xor_b32_e32 v10, v5, v9
	v_addc_co_u32_e32 v7, vcc, v8, v9, vcc
	v_mad_u64_u32 v[5:6], s[0:1], v10, s2, 0
	v_mul_hi_u32 v8, v10, s3
	v_xor_b32_e32 v11, v7, v9
	v_add_co_u32_e32 v12, vcc, v8, v5
	v_addc_co_u32_e32 v13, vcc, 0, v6, vcc
	v_mad_u64_u32 v[5:6], s[0:1], v11, s3, 0
	v_mad_u64_u32 v[7:8], s[0:1], v11, s2, 0
	v_add_co_u32_e32 v5, vcc, v12, v5
	v_addc_co_u32_e32 v5, vcc, v13, v6, vcc
	v_addc_co_u32_e32 v6, vcc, 0, v8, vcc
	v_add_co_u32_e32 v5, vcc, v5, v7
	v_addc_co_u32_e32 v6, vcc, 0, v6, vcc
	v_mul_lo_u32 v7, s17, v5
	v_mul_lo_u32 v8, s16, v6
	v_mad_u64_u32 v[5:6], s[0:1], s16, v5, 0
	v_add3_u32 v6, v6, v8, v7
	v_sub_u32_e32 v7, v11, v6
	v_mov_b32_e32 v8, s17
	v_sub_co_u32_e32 v5, vcc, v10, v5
	v_subb_co_u32_e64 v7, s[0:1], v7, v8, vcc
	v_subrev_co_u32_e64 v10, s[0:1], s16, v5
	v_subbrev_co_u32_e64 v12, s[2:3], 0, v7, s[0:1]
	v_cmp_le_u32_e64 s[2:3], s17, v12
	v_cndmask_b32_e64 v13, 0, -1, s[2:3]
	v_cmp_le_u32_e64 s[2:3], s16, v10
	v_subb_co_u32_e64 v7, s[0:1], v7, v8, s[0:1]
	v_cndmask_b32_e64 v14, 0, -1, s[2:3]
	v_cmp_eq_u32_e64 s[2:3], s17, v12
	v_subrev_co_u32_e64 v8, s[0:1], s16, v10
	v_subb_co_u32_e32 v6, vcc, v11, v6, vcc
	v_cndmask_b32_e64 v13, v13, v14, s[2:3]
	v_subbrev_co_u32_e64 v7, s[0:1], 0, v7, s[0:1]
	v_cmp_le_u32_e32 vcc, s17, v6
	v_cmp_ne_u32_e64 s[0:1], 0, v13
	v_cndmask_b32_e64 v11, 0, -1, vcc
	v_cmp_le_u32_e32 vcc, s16, v5
	v_cndmask_b32_e64 v7, v12, v7, s[0:1]
	v_cndmask_b32_e64 v12, 0, -1, vcc
	v_cmp_eq_u32_e32 vcc, s17, v6
	v_cndmask_b32_e32 v11, v11, v12, vcc
	v_cmp_ne_u32_e32 vcc, 0, v11
	v_cndmask_b32_e32 v6, v6, v7, vcc
	v_cndmask_b32_e64 v7, v10, v8, s[0:1]
	v_cndmask_b32_e32 v5, v5, v7, vcc
	v_xor_b32_e32 v5, v5, v9
	v_xor_b32_e32 v6, v6, v9
	v_sub_co_u32_e32 v5, vcc, v5, v9
	v_subb_co_u32_e32 v6, vcc, v6, v9, vcc
                                        ; implicit-def: $vgpr7_vgpr8
.LBB1_13:
	s_andn2_saveexec_b64 s[0:1], s[14:15]
	s_cbranch_execz .LBB1_15
; %bb.14:
	v_cvt_f32_u32_e32 v5, s6
	s_sub_i32 s2, 0, s6
	v_rcp_iflag_f32_e32 v5, v5
	v_mul_f32_e32 v5, 0x4f7ffffe, v5
	v_cvt_u32_f32_e32 v5, v5
	v_mul_lo_u32 v6, s2, v5
	v_mul_hi_u32 v6, v5, v6
	v_add_u32_e32 v5, v5, v6
	v_mul_hi_u32 v5, v7, v5
	v_mul_lo_u32 v5, v5, s6
	v_sub_u32_e32 v5, v7, v5
	v_subrev_u32_e32 v6, s6, v5
	v_cmp_le_u32_e32 vcc, s6, v5
	v_cndmask_b32_e32 v5, v5, v6, vcc
	v_subrev_u32_e32 v6, s6, v5
	v_cmp_le_u32_e32 vcc, s6, v5
	v_cndmask_b32_e32 v5, v5, v6, vcc
	v_mov_b32_e32 v6, 0
.LBB1_15:
	s_or_b64 exec, exec, s[0:1]
	s_mul_i32 s0, s12, s7
	s_mul_hi_u32 s1, s12, s6
	s_add_i32 s0, s1, s0
	s_mul_i32 s1, s13, s6
	s_add_i32 s1, s0, s1
	s_mov_b32 s0, 0
	s_cmp_lg_u64 s[0:1], 0
	s_mul_i32 s16, s12, s6
	s_cbranch_scc0 .LBB1_25
; %bb.16:
	s_ashr_i32 s2, s1, 31
	s_add_u32 s0, s16, s2
	s_mov_b32 s3, s2
	s_addc_u32 s1, s1, s2
	s_xor_b64 s[12:13], s[0:1], s[2:3]
	v_cvt_f32_u32_e32 v7, s12
	v_cvt_f32_u32_e32 v8, s13
	s_sub_u32 s3, 0, s12
	s_subb_u32 s14, 0, s13
	v_add_co_u32_e32 v11, vcc, 0, v0
	v_madmk_f32 v7, v8, 0x4f800000, v7
	v_rcp_f32_e32 v7, v7
	v_mul_f32_e32 v7, 0x5f7ffffc, v7
	v_mul_f32_e32 v8, 0x2f800000, v7
	v_trunc_f32_e32 v8, v8
	v_madmk_f32 v7, v8, 0xcf800000, v7
	v_cvt_u32_f32_e32 v8, v8
	v_cvt_u32_f32_e32 v7, v7
	v_readfirstlane_b32 s15, v8
	v_readfirstlane_b32 s0, v7
	s_mul_i32 s1, s3, s15
	s_mul_hi_u32 s18, s3, s0
	s_mul_i32 s17, s14, s0
	s_add_i32 s1, s18, s1
	s_add_i32 s1, s1, s17
	s_mul_i32 s19, s3, s0
	s_mul_i32 s18, s0, s1
	s_mul_hi_u32 s20, s0, s19
	s_mul_hi_u32 s17, s0, s1
	s_add_u32 s18, s20, s18
	s_addc_u32 s17, 0, s17
	s_mul_hi_u32 s21, s15, s19
	s_mul_i32 s19, s15, s19
	s_add_u32 s18, s18, s19
	s_mul_hi_u32 s20, s15, s1
	s_addc_u32 s17, s17, s21
	s_addc_u32 s18, s20, 0
	s_mul_i32 s1, s15, s1
	s_add_u32 s1, s17, s1
	s_addc_u32 s17, 0, s18
	s_add_u32 s18, s0, s1
	s_cselect_b64 s[0:1], -1, 0
	s_cmp_lg_u64 s[0:1], 0
	s_addc_u32 s15, s15, s17
	s_mul_i32 s0, s3, s15
	s_mul_hi_u32 s1, s3, s18
	s_add_i32 s0, s1, s0
	s_mul_i32 s14, s14, s18
	s_add_i32 s0, s0, s14
	s_mul_i32 s3, s3, s18
	s_mul_hi_u32 s14, s15, s3
	s_mul_i32 s17, s15, s3
	s_mul_i32 s20, s18, s0
	s_mul_hi_u32 s3, s18, s3
	s_mul_hi_u32 s19, s18, s0
	s_add_u32 s3, s3, s20
	s_addc_u32 s19, 0, s19
	s_add_u32 s3, s3, s17
	s_mul_hi_u32 s1, s15, s0
	s_addc_u32 s3, s19, s14
	s_addc_u32 s1, s1, 0
	s_mul_i32 s0, s15, s0
	s_add_u32 s0, s3, s0
	s_addc_u32 s3, 0, s1
	s_add_u32 s14, s18, s0
	s_cselect_b64 s[0:1], -1, 0
	s_cmp_lg_u64 s[0:1], 0
	s_addc_u32 s3, s15, s3
	v_mad_u64_u32 v[7:8], s[0:1], v11, s3, 0
	v_mul_hi_u32 v9, v11, s14
	v_addc_co_u32_e64 v12, s[0:1], 0, 0, vcc
	v_add_co_u32_e32 v13, vcc, v9, v7
	v_addc_co_u32_e32 v14, vcc, 0, v8, vcc
	v_mad_u64_u32 v[7:8], s[0:1], v12, s14, 0
	v_mad_u64_u32 v[9:10], s[0:1], v12, s3, 0
	v_add_co_u32_e32 v7, vcc, v13, v7
	v_addc_co_u32_e32 v7, vcc, v14, v8, vcc
	v_addc_co_u32_e32 v8, vcc, 0, v10, vcc
	v_add_co_u32_e32 v9, vcc, v7, v9
	v_addc_co_u32_e32 v10, vcc, 0, v8, vcc
	v_mul_lo_u32 v13, s13, v9
	v_mul_lo_u32 v14, s12, v10
	v_mad_u64_u32 v[7:8], s[0:1], s12, v9, 0
	v_add3_u32 v8, v8, v14, v13
	v_sub_u32_e32 v13, v12, v8
	v_mov_b32_e32 v14, s13
	v_sub_co_u32_e32 v7, vcc, v11, v7
	v_subb_co_u32_e64 v11, s[0:1], v13, v14, vcc
	v_subrev_co_u32_e64 v13, s[0:1], s12, v7
	v_subbrev_co_u32_e64 v11, s[0:1], 0, v11, s[0:1]
	v_cmp_le_u32_e64 s[0:1], s13, v11
	v_cndmask_b32_e64 v14, 0, -1, s[0:1]
	v_cmp_le_u32_e64 s[0:1], s12, v13
	v_cndmask_b32_e64 v13, 0, -1, s[0:1]
	v_cmp_eq_u32_e64 s[0:1], s13, v11
	v_cndmask_b32_e64 v11, v14, v13, s[0:1]
	v_add_co_u32_e64 v13, s[0:1], 2, v9
	v_subb_co_u32_e32 v8, vcc, v12, v8, vcc
	v_addc_co_u32_e64 v14, s[0:1], 0, v10, s[0:1]
	v_cmp_le_u32_e32 vcc, s13, v8
	v_add_co_u32_e64 v15, s[0:1], 1, v9
	v_cndmask_b32_e64 v12, 0, -1, vcc
	v_cmp_le_u32_e32 vcc, s12, v7
	v_addc_co_u32_e64 v16, s[0:1], 0, v10, s[0:1]
	v_cndmask_b32_e64 v7, 0, -1, vcc
	v_cmp_eq_u32_e32 vcc, s13, v8
	v_cmp_ne_u32_e64 s[0:1], 0, v11
	v_cndmask_b32_e32 v7, v12, v7, vcc
	v_cmp_ne_u32_e32 vcc, 0, v7
	v_cndmask_b32_e64 v8, v15, v13, s[0:1]
	v_cndmask_b32_e64 v11, v16, v14, s[0:1]
	v_cndmask_b32_e32 v8, v9, v8, vcc
	v_cndmask_b32_e32 v7, v10, v11, vcc
	v_xor_b32_e32 v8, s2, v8
	v_xor_b32_e32 v7, s2, v7
	v_mov_b32_e32 v10, s2
	v_subrev_co_u32_e32 v9, vcc, s2, v8
	v_subb_co_u32_e32 v10, vcc, v7, v10, vcc
	s_load_dwordx2 s[0:1], s[4:5], 0x0
	s_cbranch_execnz .LBB1_18
.LBB1_17:
	v_cvt_f32_u32_e32 v7, s16
	s_sub_i32 s2, 0, s16
	v_rcp_iflag_f32_e32 v7, v7
	v_mul_f32_e32 v7, 0x4f7ffffe, v7
	v_cvt_u32_f32_e32 v7, v7
	v_mul_lo_u32 v8, s2, v7
	v_mul_hi_u32 v8, v7, v8
	v_add_u32_e32 v7, v7, v8
	v_mul_hi_u32 v7, v0, v7
	v_mul_lo_u32 v8, v7, s16
	v_add_u32_e32 v9, 1, v7
	v_sub_u32_e32 v8, v0, v8
	v_subrev_u32_e32 v10, s16, v8
	v_cmp_le_u32_e32 vcc, s16, v8
	v_cndmask_b32_e32 v8, v8, v10, vcc
	v_cndmask_b32_e32 v7, v7, v9, vcc
	v_add_u32_e32 v9, 1, v7
	v_cmp_le_u32_e32 vcc, s16, v8
	v_cndmask_b32_e32 v9, v7, v9, vcc
	v_mov_b32_e32 v10, 0
.LBB1_18:
	v_mul_lo_u32 v11, v2, s8
	v_mul_lo_u32 v12, v1, s9
	v_mad_u64_u32 v[1:2], s[2:3], v1, s8, 0
	v_mad_u64_u32 v[7:8], s[2:3], v9, s6, v[5:6]
	v_mul_lo_u32 v5, v9, s7
	v_mul_lo_u32 v6, v10, s6
	v_add3_u32 v10, v2, v12, v11
	v_mul_lo_u32 v11, v7, s11
	v_add3_u32 v2, v6, v8, v5
	v_mul_lo_u32 v12, v2, s10
	v_mad_u64_u32 v[8:9], s[2:3], v7, s10, v[3:4]
	v_sub_co_u32_e32 v5, vcc, v0, v1
	v_subb_co_u32_e32 v6, vcc, 0, v10, vcc
	v_add3_u32 v0, v12, v9, v11
	v_mul_lo_u32 v9, v0, s8
	v_mad_u64_u32 v[0:1], s[2:3], v8, s8, v[5:6]
	v_mul_lo_u32 v8, v8, s9
	v_cmp_ne_u64_e32 vcc, v[5:6], v[3:4]
	v_add3_u32 v1, v9, v1, v8
	v_lshlrev_b64 v[0:1], 1, v[0:1]
	s_and_saveexec_b64 s[2:3], vcc
	s_xor_b64 s[2:3], exec, s[2:3]
	s_cbranch_execz .LBB1_20
; %bb.19:
	s_waitcnt lgkmcnt(0)
	v_mov_b32_e32 v2, s1
	v_add_co_u32_e32 v0, vcc, s0, v0
	v_addc_co_u32_e32 v1, vcc, v2, v1, vcc
	v_mov_b32_e32 v2, 0
	global_store_short v[0:1], v2, off
                                        ; implicit-def: $vgpr2
                                        ; implicit-def: $vgpr7_vgpr8
                                        ; implicit-def: $vgpr5_vgpr6
                                        ; implicit-def: $vgpr0_vgpr1
.LBB1_20:
	s_andn2_saveexec_b64 s[2:3], s[2:3]
	s_cbranch_execz .LBB1_22
; %bb.21:
	v_mul_lo_u32 v4, v2, s8
	v_mul_lo_u32 v8, v7, s9
	v_mad_u64_u32 v[2:3], s[2:3], v7, s8, 0
	s_load_dwordx2 s[2:3], s[4:5], 0x8
	v_add3_u32 v3, v3, v8, v4
	v_lshlrev_b64 v[2:3], 1, v[2:3]
	s_waitcnt lgkmcnt(0)
	v_mov_b32_e32 v4, s3
	v_add_co_u32_e32 v7, vcc, s2, v2
	v_addc_co_u32_e32 v4, vcc, v4, v3, vcc
	v_lshlrev_b64 v[2:3], 1, v[5:6]
	v_add_co_u32_e32 v2, vcc, v7, v2
	v_addc_co_u32_e32 v3, vcc, v4, v3, vcc
	global_load_ushort v2, v[2:3], off
	v_mov_b32_e32 v3, s1
	v_add_co_u32_e32 v0, vcc, s0, v0
	v_addc_co_u32_e32 v1, vcc, v3, v1, vcc
	s_waitcnt vmcnt(0)
	global_store_short v[0:1], v2, off
.LBB1_22:
	s_endpgm
.LBB1_23:
                                        ; implicit-def: $vgpr1_vgpr2
	s_branch .LBB1_3
.LBB1_24:
                                        ; implicit-def: $vgpr7_vgpr8
	s_branch .LBB1_10
.LBB1_25:
                                        ; implicit-def: $vgpr9_vgpr10
	s_load_dwordx2 s[0:1], s[4:5], 0x0
	s_branch .LBB1_17
	.section	.rodata,"a",@progbits
	.p2align	6, 0x0
	.amdhsa_kernel _ZL11diag_kernelI6__halfEvPT_PKS1_lllll
		.amdhsa_group_segment_fixed_size 0
		.amdhsa_private_segment_fixed_size 0
		.amdhsa_kernarg_size 312
		.amdhsa_user_sgpr_count 6
		.amdhsa_user_sgpr_private_segment_buffer 1
		.amdhsa_user_sgpr_dispatch_ptr 0
		.amdhsa_user_sgpr_queue_ptr 0
		.amdhsa_user_sgpr_kernarg_segment_ptr 1
		.amdhsa_user_sgpr_dispatch_id 0
		.amdhsa_user_sgpr_flat_scratch_init 0
		.amdhsa_user_sgpr_private_segment_size 0
		.amdhsa_uses_dynamic_stack 0
		.amdhsa_system_sgpr_private_segment_wavefront_offset 0
		.amdhsa_system_sgpr_workgroup_id_x 1
		.amdhsa_system_sgpr_workgroup_id_y 0
		.amdhsa_system_sgpr_workgroup_id_z 0
		.amdhsa_system_sgpr_workgroup_info 0
		.amdhsa_system_vgpr_workitem_id 0
		.amdhsa_next_free_vgpr 17
		.amdhsa_next_free_sgpr 24
		.amdhsa_reserve_vcc 1
		.amdhsa_reserve_flat_scratch 0
		.amdhsa_float_round_mode_32 0
		.amdhsa_float_round_mode_16_64 0
		.amdhsa_float_denorm_mode_32 3
		.amdhsa_float_denorm_mode_16_64 3
		.amdhsa_dx10_clamp 1
		.amdhsa_ieee_mode 1
		.amdhsa_fp16_overflow 0
		.amdhsa_exception_fp_ieee_invalid_op 0
		.amdhsa_exception_fp_denorm_src 0
		.amdhsa_exception_fp_ieee_div_zero 0
		.amdhsa_exception_fp_ieee_overflow 0
		.amdhsa_exception_fp_ieee_underflow 0
		.amdhsa_exception_fp_ieee_inexact 0
		.amdhsa_exception_int_div_zero 0
	.end_amdhsa_kernel
	.section	.text._ZL11diag_kernelI6__halfEvPT_PKS1_lllll,"axG",@progbits,_ZL11diag_kernelI6__halfEvPT_PKS1_lllll,comdat
.Lfunc_end1:
	.size	_ZL11diag_kernelI6__halfEvPT_PKS1_lllll, .Lfunc_end1-_ZL11diag_kernelI6__halfEvPT_PKS1_lllll
                                        ; -- End function
	.set _ZL11diag_kernelI6__halfEvPT_PKS1_lllll.num_vgpr, 17
	.set _ZL11diag_kernelI6__halfEvPT_PKS1_lllll.num_agpr, 0
	.set _ZL11diag_kernelI6__halfEvPT_PKS1_lllll.numbered_sgpr, 24
	.set _ZL11diag_kernelI6__halfEvPT_PKS1_lllll.num_named_barrier, 0
	.set _ZL11diag_kernelI6__halfEvPT_PKS1_lllll.private_seg_size, 0
	.set _ZL11diag_kernelI6__halfEvPT_PKS1_lllll.uses_vcc, 1
	.set _ZL11diag_kernelI6__halfEvPT_PKS1_lllll.uses_flat_scratch, 0
	.set _ZL11diag_kernelI6__halfEvPT_PKS1_lllll.has_dyn_sized_stack, 0
	.set _ZL11diag_kernelI6__halfEvPT_PKS1_lllll.has_recursion, 0
	.set _ZL11diag_kernelI6__halfEvPT_PKS1_lllll.has_indirect_call, 0
	.section	.AMDGPU.csdata,"",@progbits
; Kernel info:
; codeLenInByte = 4080
; TotalNumSgprs: 28
; NumVgprs: 17
; ScratchSize: 0
; MemoryBound: 0
; FloatMode: 240
; IeeeMode: 1
; LDSByteSize: 0 bytes/workgroup (compile time only)
; SGPRBlocks: 3
; VGPRBlocks: 4
; NumSGPRsForWavesPerEU: 28
; NumVGPRsForWavesPerEU: 17
; Occupancy: 10
; WaveLimiterHint : 0
; COMPUTE_PGM_RSRC2:SCRATCH_EN: 0
; COMPUTE_PGM_RSRC2:USER_SGPR: 6
; COMPUTE_PGM_RSRC2:TRAP_HANDLER: 0
; COMPUTE_PGM_RSRC2:TGID_X_EN: 1
; COMPUTE_PGM_RSRC2:TGID_Y_EN: 0
; COMPUTE_PGM_RSRC2:TGID_Z_EN: 0
; COMPUTE_PGM_RSRC2:TIDIG_COMP_CNT: 0
	.section	.AMDGPU.gpr_maximums,"",@progbits
	.set amdgpu.max_num_vgpr, 0
	.set amdgpu.max_num_agpr, 0
	.set amdgpu.max_num_sgpr, 0
	.section	.AMDGPU.csdata,"",@progbits
	.type	__hip_cuid_f6ade85945f57c22,@object ; @__hip_cuid_f6ade85945f57c22
	.section	.bss,"aw",@nobits
	.globl	__hip_cuid_f6ade85945f57c22
__hip_cuid_f6ade85945f57c22:
	.byte	0                               ; 0x0
	.size	__hip_cuid_f6ade85945f57c22, 1

	.ident	"AMD clang version 22.0.0git (https://github.com/RadeonOpenCompute/llvm-project roc-7.2.4 26084 f58b06dce1f9c15707c5f808fd002e18c2accf7e)"
	.section	".note.GNU-stack","",@progbits
	.addrsig
	.addrsig_sym __hip_cuid_f6ade85945f57c22
	.amdgpu_metadata
---
amdhsa.kernels:
  - .args:
      - .actual_access:  write_only
        .address_space:  global
        .offset:         0
        .size:           8
        .value_kind:     global_buffer
      - .actual_access:  read_only
        .address_space:  global
        .offset:         8
        .size:           8
        .value_kind:     global_buffer
      - .offset:         16
        .size:           8
        .value_kind:     by_value
      - .offset:         24
        .size:           8
        .value_kind:     by_value
      - .offset:         32
        .size:           8
        .value_kind:     by_value
      - .offset:         40
        .size:           8
        .value_kind:     by_value
      - .offset:         48
        .size:           8
        .value_kind:     by_value
      - .offset:         56
        .size:           4
        .value_kind:     hidden_block_count_x
      - .offset:         60
        .size:           4
        .value_kind:     hidden_block_count_y
      - .offset:         64
        .size:           4
        .value_kind:     hidden_block_count_z
      - .offset:         68
        .size:           2
        .value_kind:     hidden_group_size_x
      - .offset:         70
        .size:           2
        .value_kind:     hidden_group_size_y
      - .offset:         72
        .size:           2
        .value_kind:     hidden_group_size_z
      - .offset:         74
        .size:           2
        .value_kind:     hidden_remainder_x
      - .offset:         76
        .size:           2
        .value_kind:     hidden_remainder_y
      - .offset:         78
        .size:           2
        .value_kind:     hidden_remainder_z
      - .offset:         96
        .size:           8
        .value_kind:     hidden_global_offset_x
      - .offset:         104
        .size:           8
        .value_kind:     hidden_global_offset_y
      - .offset:         112
        .size:           8
        .value_kind:     hidden_global_offset_z
      - .offset:         120
        .size:           2
        .value_kind:     hidden_grid_dims
    .group_segment_fixed_size: 0
    .kernarg_segment_align: 8
    .kernarg_segment_size: 312
    .language:       OpenCL C
    .language_version:
      - 2
      - 0
    .max_flat_workgroup_size: 1024
    .name:           _ZL11diag_kernelIfEvPT_PKS0_lllll
    .private_segment_fixed_size: 0
    .sgpr_count:     28
    .sgpr_spill_count: 0
    .symbol:         _ZL11diag_kernelIfEvPT_PKS0_lllll.kd
    .uniform_work_group_size: 1
    .uses_dynamic_stack: false
    .vgpr_count:     17
    .vgpr_spill_count: 0
    .wavefront_size: 64
  - .args:
      - .actual_access:  write_only
        .address_space:  global
        .offset:         0
        .size:           8
        .value_kind:     global_buffer
      - .actual_access:  read_only
        .address_space:  global
        .offset:         8
        .size:           8
        .value_kind:     global_buffer
      - .offset:         16
        .size:           8
        .value_kind:     by_value
      - .offset:         24
        .size:           8
        .value_kind:     by_value
      - .offset:         32
        .size:           8
        .value_kind:     by_value
      - .offset:         40
        .size:           8
        .value_kind:     by_value
      - .offset:         48
        .size:           8
        .value_kind:     by_value
      - .offset:         56
        .size:           4
        .value_kind:     hidden_block_count_x
      - .offset:         60
        .size:           4
        .value_kind:     hidden_block_count_y
      - .offset:         64
        .size:           4
        .value_kind:     hidden_block_count_z
      - .offset:         68
        .size:           2
        .value_kind:     hidden_group_size_x
      - .offset:         70
        .size:           2
        .value_kind:     hidden_group_size_y
      - .offset:         72
        .size:           2
        .value_kind:     hidden_group_size_z
      - .offset:         74
        .size:           2
        .value_kind:     hidden_remainder_x
      - .offset:         76
        .size:           2
        .value_kind:     hidden_remainder_y
      - .offset:         78
        .size:           2
        .value_kind:     hidden_remainder_z
      - .offset:         96
        .size:           8
        .value_kind:     hidden_global_offset_x
      - .offset:         104
        .size:           8
        .value_kind:     hidden_global_offset_y
      - .offset:         112
        .size:           8
        .value_kind:     hidden_global_offset_z
      - .offset:         120
        .size:           2
        .value_kind:     hidden_grid_dims
    .group_segment_fixed_size: 0
    .kernarg_segment_align: 8
    .kernarg_segment_size: 312
    .language:       OpenCL C
    .language_version:
      - 2
      - 0
    .max_flat_workgroup_size: 1024
    .name:           _ZL11diag_kernelI6__halfEvPT_PKS1_lllll
    .private_segment_fixed_size: 0
    .sgpr_count:     28
    .sgpr_spill_count: 0
    .symbol:         _ZL11diag_kernelI6__halfEvPT_PKS1_lllll.kd
    .uniform_work_group_size: 1
    .uses_dynamic_stack: false
    .vgpr_count:     17
    .vgpr_spill_count: 0
    .wavefront_size: 64
amdhsa.target:   amdgcn-amd-amdhsa--gfx906
amdhsa.version:
  - 1
  - 2
...

	.end_amdgpu_metadata
